;; amdgpu-corpus repo=ROCm/rocSPARSE kind=compiled arch=gfx906 opt=O3
	.amdgcn_target "amdgcn-amd-amdhsa--gfx906"
	.amdhsa_code_object_version 6
	.section	.text._ZN9rocsparseL19csrcolor_kernel_jplILj256EiiEEvT1_S1_PKT0_PKS1_21rocsparse_index_base_PS1_,"axG",@progbits,_ZN9rocsparseL19csrcolor_kernel_jplILj256EiiEEvT1_S1_PKT0_PKS1_21rocsparse_index_base_PS1_,comdat
	.globl	_ZN9rocsparseL19csrcolor_kernel_jplILj256EiiEEvT1_S1_PKT0_PKS1_21rocsparse_index_base_PS1_ ; -- Begin function _ZN9rocsparseL19csrcolor_kernel_jplILj256EiiEEvT1_S1_PKT0_PKS1_21rocsparse_index_base_PS1_
	.p2align	8
	.type	_ZN9rocsparseL19csrcolor_kernel_jplILj256EiiEEvT1_S1_PKT0_PKS1_21rocsparse_index_base_PS1_,@function
_ZN9rocsparseL19csrcolor_kernel_jplILj256EiiEEvT1_S1_PKT0_PKS1_21rocsparse_index_base_PS1_: ; @_ZN9rocsparseL19csrcolor_kernel_jplILj256EiiEEvT1_S1_PKT0_PKS1_21rocsparse_index_base_PS1_
; %bb.0:
	s_load_dword s0, s[4:5], 0x34
	s_load_dwordx2 s[2:3], s[4:5], 0x0
	s_waitcnt lgkmcnt(0)
	s_and_b32 s0, s0, 0xffff
	s_mul_i32 s6, s6, s0
	v_add_u32_e32 v2, s6, v0
	v_cmp_gt_i32_e32 vcc, s2, v2
	s_and_saveexec_b64 s[0:1], vcc
	s_cbranch_execz .LBB0_12
; %bb.1:
	s_load_dwordx2 s[6:7], s[4:5], 0x20
	v_ashrrev_i32_e32 v3, 31, v2
	v_lshlrev_b64 v[3:4], 2, v[2:3]
	s_waitcnt lgkmcnt(0)
	v_mov_b32_e32 v1, s7
	v_add_co_u32_e32 v0, vcc, s6, v3
	v_addc_co_u32_e32 v1, vcc, v1, v4, vcc
	global_load_dword v5, v[0:1], off
	s_waitcnt vmcnt(0)
	v_cmp_eq_u32_e32 vcc, -1, v5
	s_and_b64 exec, exec, vcc
	s_cbranch_execz .LBB0_12
; %bb.2:
	s_load_dwordx2 s[0:1], s[4:5], 0x8
	s_waitcnt lgkmcnt(0)
	v_mov_b32_e32 v5, s1
	v_add_co_u32_e32 v3, vcc, s0, v3
	v_addc_co_u32_e32 v4, vcc, v5, v4, vcc
	global_load_dwordx2 v[3:4], v[3:4], off
	s_mov_b64 s[0:1], -1
	v_mov_b32_e32 v5, s3
	s_waitcnt vmcnt(0)
	v_cmp_lt_i32_e32 vcc, v3, v4
	s_and_saveexec_b64 s[8:9], vcc
	s_cbranch_execz .LBB0_10
; %bb.3:
	v_xor_b32_sdwa v5, v2, v2 dst_sel:DWORD dst_unused:UNUSED_PAD src0_sel:WORD_1 src1_sel:DWORD
	s_mov_b32 s2, 0x85ebca6b
	v_mul_lo_u32 v5, v5, s2
	s_load_dword s26, s[4:5], 0x18
	s_load_dwordx2 s[0:1], s[4:5], 0x10
	s_mov_b32 s27, 0xc2b2ae35
	v_lshrrev_b32_e32 v6, 13, v5
	v_xor_b32_e32 v5, v6, v5
	v_mul_lo_u32 v5, v5, s27
	s_waitcnt lgkmcnt(0)
	v_subrev_u32_e32 v3, s26, v3
	v_subrev_u32_e32 v8, s26, v4
	v_ashrrev_i32_e32 v4, 31, v3
	v_xor_b32_sdwa v9, v5, v5 dst_sel:DWORD dst_unused:UNUSED_PAD src0_sel:WORD_1 src1_sel:DWORD
	v_lshlrev_b64 v[4:5], 2, v[3:4]
	v_mov_b32_e32 v6, s1
	v_add_co_u32_e32 v4, vcc, s0, v4
	s_add_i32 s28, s3, 1
	v_addc_co_u32_e32 v5, vcc, v6, v5, vcc
	s_mov_b64 s[18:19], -1
	s_mov_b64 s[4:5], 0
	s_mov_b64 s[20:21], -1
                                        ; implicit-def: $sgpr14_sgpr15
                                        ; implicit-def: $sgpr16_sgpr17
                                        ; implicit-def: $sgpr12_sgpr13
                                        ; implicit-def: $sgpr10_sgpr11
	s_branch .LBB0_6
.LBB0_4:                                ;   in Loop: Header=BB0_6 Depth=1
	s_or_b64 exec, exec, s[24:25]
	s_andn2_b64 s[0:1], s[16:17], exec
	s_and_b64 s[16:17], s[18:19], exec
	s_or_b64 s[16:17], s[0:1], s[16:17]
	s_andn2_b64 s[0:1], s[14:15], exec
	s_and_b64 s[14:15], s[20:21], exec
	s_or_b64 s[14:15], s[0:1], s[14:15]
                                        ; implicit-def: $sgpr18_sgpr19
                                        ; implicit-def: $sgpr20_sgpr21
.LBB0_5:                                ;   in Loop: Header=BB0_6 Depth=1
	s_or_b64 exec, exec, s[22:23]
	v_add_co_u32_e32 v4, vcc, 4, v4
	v_add_u32_e32 v3, 1, v3
	v_addc_co_u32_e32 v5, vcc, 0, v5, vcc
	v_cmp_ge_i32_e32 vcc, v3, v8
	s_or_b64 s[4:5], vcc, s[4:5]
	s_andn2_b64 s[0:1], s[10:11], exec
	s_and_b64 s[22:23], s[16:17], exec
	s_or_b64 s[10:11], s[0:1], s[22:23]
	s_andn2_b64 s[0:1], s[12:13], exec
	s_and_b64 s[24:25], s[14:15], exec
	s_or_b64 s[12:13], s[0:1], s[24:25]
	s_andn2_b64 s[0:1], s[20:21], exec
	s_or_b64 s[20:21], s[0:1], s[24:25]
	s_andn2_b64 s[0:1], s[18:19], exec
	s_or_b64 s[18:19], s[0:1], s[22:23]
	s_andn2_b64 exec, exec, s[4:5]
	s_cbranch_execz .LBB0_9
.LBB0_6:                                ; =>This Inner Loop Header: Depth=1
	global_load_dword v6, v[4:5], off
	s_andn2_b64 s[0:1], s[16:17], exec
	s_and_b64 s[16:17], s[18:19], exec
	s_andn2_b64 s[14:15], s[14:15], exec
	s_and_b64 s[22:23], s[20:21], exec
	s_or_b64 s[16:17], s[0:1], s[16:17]
	s_or_b64 s[14:15], s[14:15], s[22:23]
	s_waitcnt vmcnt(0)
	v_subrev_u32_e32 v6, s26, v6
	v_cmp_ne_u32_e32 vcc, v2, v6
	s_and_saveexec_b64 s[22:23], vcc
	s_cbranch_execz .LBB0_5
; %bb.7:                                ;   in Loop: Header=BB0_6 Depth=1
	v_ashrrev_i32_e32 v7, 31, v6
	v_lshlrev_b64 v[10:11], 2, v[6:7]
	v_mov_b32_e32 v7, s7
	v_add_co_u32_e32 v10, vcc, s6, v10
	v_addc_co_u32_e32 v11, vcc, v7, v11, vcc
	global_load_dword v7, v[10:11], off
	s_waitcnt vmcnt(0)
	v_cmp_eq_u32_e32 vcc, -1, v7
	v_cmp_eq_u32_e64 s[0:1], s3, v7
	s_or_b64 s[0:1], vcc, s[0:1]
	v_cmp_eq_u32_e32 vcc, s28, v7
	s_or_b64 s[0:1], s[0:1], vcc
	s_and_saveexec_b64 s[24:25], s[0:1]
	s_cbranch_execz .LBB0_4
; %bb.8:                                ;   in Loop: Header=BB0_6 Depth=1
	v_xor_b32_sdwa v6, v6, v6 dst_sel:DWORD dst_unused:UNUSED_PAD src0_sel:WORD_1 src1_sel:DWORD
	v_mul_lo_u32 v6, v6, s2
	s_andn2_b64 s[34:35], s[18:19], exec
	s_andn2_b64 s[30:31], s[20:21], exec
	v_lshrrev_b32_e32 v7, 13, v6
	v_xor_b32_e32 v6, v7, v6
	v_mul_lo_u32 v6, v6, s27
	v_xor_b32_sdwa v6, v6, v6 dst_sel:DWORD dst_unused:UNUSED_PAD src0_sel:WORD_1 src1_sel:DWORD
	v_cmp_gt_u32_e32 vcc, v9, v6
	v_cmp_lt_u32_e64 s[0:1], v9, v6
	s_and_b64 s[18:19], vcc, s[18:19]
	s_and_b64 s[0:1], s[0:1], s[20:21]
	s_and_b64 s[0:1], s[0:1], exec
	s_and_b64 s[18:19], s[18:19], exec
	s_or_b64 s[20:21], s[30:31], s[0:1]
	s_or_b64 s[18:19], s[34:35], s[18:19]
	s_branch .LBB0_4
.LBB0_9:
	s_or_b64 exec, exec, s[4:5]
	s_or_b64 s[0:1], s[10:11], s[12:13]
	v_mov_b32_e32 v2, s28
	v_mov_b32_e32 v3, s3
	v_cndmask_b32_e64 v5, v2, v3, s[10:11]
	s_orn2_b64 s[0:1], s[0:1], exec
.LBB0_10:
	s_or_b64 exec, exec, s[8:9]
	s_and_b64 exec, exec, s[0:1]
	s_cbranch_execz .LBB0_12
; %bb.11:
	global_store_dword v[0:1], v5, off
.LBB0_12:
	s_endpgm
	.section	.rodata,"a",@progbits
	.p2align	6, 0x0
	.amdhsa_kernel _ZN9rocsparseL19csrcolor_kernel_jplILj256EiiEEvT1_S1_PKT0_PKS1_21rocsparse_index_base_PS1_
		.amdhsa_group_segment_fixed_size 0
		.amdhsa_private_segment_fixed_size 0
		.amdhsa_kernarg_size 296
		.amdhsa_user_sgpr_count 6
		.amdhsa_user_sgpr_private_segment_buffer 1
		.amdhsa_user_sgpr_dispatch_ptr 0
		.amdhsa_user_sgpr_queue_ptr 0
		.amdhsa_user_sgpr_kernarg_segment_ptr 1
		.amdhsa_user_sgpr_dispatch_id 0
		.amdhsa_user_sgpr_flat_scratch_init 0
		.amdhsa_user_sgpr_private_segment_size 0
		.amdhsa_uses_dynamic_stack 0
		.amdhsa_system_sgpr_private_segment_wavefront_offset 0
		.amdhsa_system_sgpr_workgroup_id_x 1
		.amdhsa_system_sgpr_workgroup_id_y 0
		.amdhsa_system_sgpr_workgroup_id_z 0
		.amdhsa_system_sgpr_workgroup_info 0
		.amdhsa_system_vgpr_workitem_id 0
		.amdhsa_next_free_vgpr 12
		.amdhsa_next_free_sgpr 36
		.amdhsa_reserve_vcc 1
		.amdhsa_reserve_flat_scratch 0
		.amdhsa_float_round_mode_32 0
		.amdhsa_float_round_mode_16_64 0
		.amdhsa_float_denorm_mode_32 3
		.amdhsa_float_denorm_mode_16_64 3
		.amdhsa_dx10_clamp 1
		.amdhsa_ieee_mode 1
		.amdhsa_fp16_overflow 0
		.amdhsa_exception_fp_ieee_invalid_op 0
		.amdhsa_exception_fp_denorm_src 0
		.amdhsa_exception_fp_ieee_div_zero 0
		.amdhsa_exception_fp_ieee_overflow 0
		.amdhsa_exception_fp_ieee_underflow 0
		.amdhsa_exception_fp_ieee_inexact 0
		.amdhsa_exception_int_div_zero 0
	.end_amdhsa_kernel
	.section	.text._ZN9rocsparseL19csrcolor_kernel_jplILj256EiiEEvT1_S1_PKT0_PKS1_21rocsparse_index_base_PS1_,"axG",@progbits,_ZN9rocsparseL19csrcolor_kernel_jplILj256EiiEEvT1_S1_PKT0_PKS1_21rocsparse_index_base_PS1_,comdat
.Lfunc_end0:
	.size	_ZN9rocsparseL19csrcolor_kernel_jplILj256EiiEEvT1_S1_PKT0_PKS1_21rocsparse_index_base_PS1_, .Lfunc_end0-_ZN9rocsparseL19csrcolor_kernel_jplILj256EiiEEvT1_S1_PKT0_PKS1_21rocsparse_index_base_PS1_
                                        ; -- End function
	.set _ZN9rocsparseL19csrcolor_kernel_jplILj256EiiEEvT1_S1_PKT0_PKS1_21rocsparse_index_base_PS1_.num_vgpr, 12
	.set _ZN9rocsparseL19csrcolor_kernel_jplILj256EiiEEvT1_S1_PKT0_PKS1_21rocsparse_index_base_PS1_.num_agpr, 0
	.set _ZN9rocsparseL19csrcolor_kernel_jplILj256EiiEEvT1_S1_PKT0_PKS1_21rocsparse_index_base_PS1_.numbered_sgpr, 36
	.set _ZN9rocsparseL19csrcolor_kernel_jplILj256EiiEEvT1_S1_PKT0_PKS1_21rocsparse_index_base_PS1_.num_named_barrier, 0
	.set _ZN9rocsparseL19csrcolor_kernel_jplILj256EiiEEvT1_S1_PKT0_PKS1_21rocsparse_index_base_PS1_.private_seg_size, 0
	.set _ZN9rocsparseL19csrcolor_kernel_jplILj256EiiEEvT1_S1_PKT0_PKS1_21rocsparse_index_base_PS1_.uses_vcc, 1
	.set _ZN9rocsparseL19csrcolor_kernel_jplILj256EiiEEvT1_S1_PKT0_PKS1_21rocsparse_index_base_PS1_.uses_flat_scratch, 0
	.set _ZN9rocsparseL19csrcolor_kernel_jplILj256EiiEEvT1_S1_PKT0_PKS1_21rocsparse_index_base_PS1_.has_dyn_sized_stack, 0
	.set _ZN9rocsparseL19csrcolor_kernel_jplILj256EiiEEvT1_S1_PKT0_PKS1_21rocsparse_index_base_PS1_.has_recursion, 0
	.set _ZN9rocsparseL19csrcolor_kernel_jplILj256EiiEEvT1_S1_PKT0_PKS1_21rocsparse_index_base_PS1_.has_indirect_call, 0
	.section	.AMDGPU.csdata,"",@progbits
; Kernel info:
; codeLenInByte = 652
; TotalNumSgprs: 40
; NumVgprs: 12
; ScratchSize: 0
; MemoryBound: 0
; FloatMode: 240
; IeeeMode: 1
; LDSByteSize: 0 bytes/workgroup (compile time only)
; SGPRBlocks: 4
; VGPRBlocks: 2
; NumSGPRsForWavesPerEU: 40
; NumVGPRsForWavesPerEU: 12
; Occupancy: 10
; WaveLimiterHint : 1
; COMPUTE_PGM_RSRC2:SCRATCH_EN: 0
; COMPUTE_PGM_RSRC2:USER_SGPR: 6
; COMPUTE_PGM_RSRC2:TRAP_HANDLER: 0
; COMPUTE_PGM_RSRC2:TGID_X_EN: 1
; COMPUTE_PGM_RSRC2:TGID_Y_EN: 0
; COMPUTE_PGM_RSRC2:TGID_Z_EN: 0
; COMPUTE_PGM_RSRC2:TIDIG_COMP_CNT: 0
	.section	.text._ZN9rocsparseL31csrcolor_kernel_count_uncoloredILj256EiEEvT0_PKS1_PS1_,"axG",@progbits,_ZN9rocsparseL31csrcolor_kernel_count_uncoloredILj256EiEEvT0_PKS1_PS1_,comdat
	.globl	_ZN9rocsparseL31csrcolor_kernel_count_uncoloredILj256EiEEvT0_PKS1_PS1_ ; -- Begin function _ZN9rocsparseL31csrcolor_kernel_count_uncoloredILj256EiEEvT0_PKS1_PS1_
	.p2align	8
	.type	_ZN9rocsparseL31csrcolor_kernel_count_uncoloredILj256EiEEvT0_PKS1_PS1_,@function
_ZN9rocsparseL31csrcolor_kernel_count_uncoloredILj256EiEEvT0_PKS1_PS1_: ; @_ZN9rocsparseL31csrcolor_kernel_count_uncoloredILj256EiEEvT0_PKS1_PS1_
; %bb.0:
	s_load_dword s2, s[4:5], 0x24
	s_load_dword s7, s[4:5], 0x0
	s_load_dwordx2 s[0:1], s[4:5], 0x10
	s_add_u32 s8, s4, 24
	s_addc_u32 s9, s5, 0
	s_waitcnt lgkmcnt(0)
	s_and_b32 s10, s2, 0xffff
	s_mul_i32 s2, s6, s10
	v_add_u32_e32 v1, s2, v0
	v_cmp_gt_i32_e32 vcc, s7, v1
	v_mov_b32_e32 v4, 0
	s_and_saveexec_b64 s[2:3], vcc
	s_cbranch_execz .LBB1_4
; %bb.1:
	s_load_dword s11, s[8:9], 0x0
	s_load_dwordx2 s[12:13], s[4:5], 0x8
	v_ashrrev_i32_e32 v2, 31, v1
	v_lshlrev_b64 v[2:3], 2, v[1:2]
	s_waitcnt lgkmcnt(0)
	s_mul_i32 s4, s11, s10
	s_ashr_i32 s5, s4, 31
	v_mov_b32_e32 v4, s13
	v_add_co_u32_e32 v2, vcc, s12, v2
	s_lshl_b64 s[8:9], s[4:5], 2
	v_addc_co_u32_e32 v3, vcc, v4, v3, vcc
	v_mov_b32_e32 v4, 0
	s_mov_b64 s[10:11], 0
	v_mov_b32_e32 v5, s9
.LBB1_2:                                ; =>This Inner Loop Header: Depth=1
	global_load_dword v6, v[2:3], off
	v_add_co_u32_e32 v2, vcc, s8, v2
	v_add_u32_e32 v1, s4, v1
	v_addc_co_u32_e32 v3, vcc, v3, v5, vcc
	v_cmp_le_i32_e32 vcc, s7, v1
	s_or_b64 s[10:11], vcc, s[10:11]
	s_waitcnt vmcnt(0)
	v_cmp_eq_u32_e32 vcc, -1, v6
	v_addc_co_u32_e32 v4, vcc, 0, v4, vcc
	s_andn2_b64 exec, exec, s[10:11]
	s_cbranch_execnz .LBB1_2
; %bb.3:
	s_or_b64 exec, exec, s[10:11]
.LBB1_4:
	s_or_b64 exec, exec, s[2:3]
	s_movk_i32 s2, 0x80
	v_lshlrev_b32_e32 v1, 2, v0
	v_cmp_gt_u32_e32 vcc, s2, v0
	ds_write_b32 v1, v4
	s_waitcnt lgkmcnt(0)
	s_barrier
	s_and_saveexec_b64 s[2:3], vcc
	s_cbranch_execz .LBB1_6
; %bb.5:
	ds_read2st64_b32 v[2:3], v1 offset1:2
	s_waitcnt lgkmcnt(0)
	v_add_u32_e32 v2, v3, v2
	ds_write_b32 v1, v2
.LBB1_6:
	s_or_b64 exec, exec, s[2:3]
	v_cmp_gt_u32_e32 vcc, 64, v0
	s_waitcnt lgkmcnt(0)
	s_barrier
	s_and_saveexec_b64 s[2:3], vcc
	s_cbranch_execz .LBB1_8
; %bb.7:
	ds_read2st64_b32 v[2:3], v1 offset1:1
	s_waitcnt lgkmcnt(0)
	v_add_u32_e32 v2, v3, v2
	ds_write_b32 v1, v2
.LBB1_8:
	s_or_b64 exec, exec, s[2:3]
	v_cmp_gt_u32_e32 vcc, 32, v0
	s_waitcnt lgkmcnt(0)
	s_barrier
	s_and_saveexec_b64 s[2:3], vcc
	s_cbranch_execz .LBB1_10
; %bb.9:
	ds_read2_b32 v[2:3], v1 offset1:32
	s_waitcnt lgkmcnt(0)
	v_add_u32_e32 v2, v3, v2
	ds_write_b32 v1, v2
.LBB1_10:
	s_or_b64 exec, exec, s[2:3]
	v_cmp_gt_u32_e32 vcc, 16, v0
	s_waitcnt lgkmcnt(0)
	s_barrier
	s_and_saveexec_b64 s[2:3], vcc
	s_cbranch_execz .LBB1_12
; %bb.11:
	ds_read2_b32 v[2:3], v1 offset1:16
	s_waitcnt lgkmcnt(0)
	v_add_u32_e32 v2, v3, v2
	ds_write_b32 v1, v2
.LBB1_12:
	;; [unrolled: 12-line block ×5, first 2 shown]
	s_or_b64 exec, exec, s[2:3]
	v_cmp_eq_u32_e32 vcc, 0, v0
	s_waitcnt lgkmcnt(0)
	s_barrier
	s_and_saveexec_b64 s[2:3], vcc
	s_cbranch_execz .LBB1_20
; %bb.19:
	v_mov_b32_e32 v2, 0
	ds_read_b64 v[0:1], v2
	s_waitcnt lgkmcnt(0)
	v_add_u32_e32 v0, v1, v0
	ds_write_b32 v2, v0
.LBB1_20:
	s_or_b64 exec, exec, s[2:3]
	s_waitcnt lgkmcnt(0)
	s_barrier
	s_and_saveexec_b64 s[2:3], vcc
	s_cbranch_execz .LBB1_22
; %bb.21:
	v_mov_b32_e32 v0, 0
	ds_read_b32 v1, v0
	s_mov_b32 s7, 0
	s_lshl_b64 s[2:3], s[6:7], 2
	s_add_u32 s0, s0, s2
	s_addc_u32 s1, s1, s3
	s_waitcnt lgkmcnt(0)
	global_store_dword v0, v1, s[0:1]
.LBB1_22:
	s_endpgm
	.section	.rodata,"a",@progbits
	.p2align	6, 0x0
	.amdhsa_kernel _ZN9rocsparseL31csrcolor_kernel_count_uncoloredILj256EiEEvT0_PKS1_PS1_
		.amdhsa_group_segment_fixed_size 1024
		.amdhsa_private_segment_fixed_size 0
		.amdhsa_kernarg_size 280
		.amdhsa_user_sgpr_count 6
		.amdhsa_user_sgpr_private_segment_buffer 1
		.amdhsa_user_sgpr_dispatch_ptr 0
		.amdhsa_user_sgpr_queue_ptr 0
		.amdhsa_user_sgpr_kernarg_segment_ptr 1
		.amdhsa_user_sgpr_dispatch_id 0
		.amdhsa_user_sgpr_flat_scratch_init 0
		.amdhsa_user_sgpr_private_segment_size 0
		.amdhsa_uses_dynamic_stack 0
		.amdhsa_system_sgpr_private_segment_wavefront_offset 0
		.amdhsa_system_sgpr_workgroup_id_x 1
		.amdhsa_system_sgpr_workgroup_id_y 0
		.amdhsa_system_sgpr_workgroup_id_z 0
		.amdhsa_system_sgpr_workgroup_info 0
		.amdhsa_system_vgpr_workitem_id 0
		.amdhsa_next_free_vgpr 7
		.amdhsa_next_free_sgpr 14
		.amdhsa_reserve_vcc 1
		.amdhsa_reserve_flat_scratch 0
		.amdhsa_float_round_mode_32 0
		.amdhsa_float_round_mode_16_64 0
		.amdhsa_float_denorm_mode_32 3
		.amdhsa_float_denorm_mode_16_64 3
		.amdhsa_dx10_clamp 1
		.amdhsa_ieee_mode 1
		.amdhsa_fp16_overflow 0
		.amdhsa_exception_fp_ieee_invalid_op 0
		.amdhsa_exception_fp_denorm_src 0
		.amdhsa_exception_fp_ieee_div_zero 0
		.amdhsa_exception_fp_ieee_overflow 0
		.amdhsa_exception_fp_ieee_underflow 0
		.amdhsa_exception_fp_ieee_inexact 0
		.amdhsa_exception_int_div_zero 0
	.end_amdhsa_kernel
	.section	.text._ZN9rocsparseL31csrcolor_kernel_count_uncoloredILj256EiEEvT0_PKS1_PS1_,"axG",@progbits,_ZN9rocsparseL31csrcolor_kernel_count_uncoloredILj256EiEEvT0_PKS1_PS1_,comdat
.Lfunc_end1:
	.size	_ZN9rocsparseL31csrcolor_kernel_count_uncoloredILj256EiEEvT0_PKS1_PS1_, .Lfunc_end1-_ZN9rocsparseL31csrcolor_kernel_count_uncoloredILj256EiEEvT0_PKS1_PS1_
                                        ; -- End function
	.set _ZN9rocsparseL31csrcolor_kernel_count_uncoloredILj256EiEEvT0_PKS1_PS1_.num_vgpr, 7
	.set _ZN9rocsparseL31csrcolor_kernel_count_uncoloredILj256EiEEvT0_PKS1_PS1_.num_agpr, 0
	.set _ZN9rocsparseL31csrcolor_kernel_count_uncoloredILj256EiEEvT0_PKS1_PS1_.numbered_sgpr, 14
	.set _ZN9rocsparseL31csrcolor_kernel_count_uncoloredILj256EiEEvT0_PKS1_PS1_.num_named_barrier, 0
	.set _ZN9rocsparseL31csrcolor_kernel_count_uncoloredILj256EiEEvT0_PKS1_PS1_.private_seg_size, 0
	.set _ZN9rocsparseL31csrcolor_kernel_count_uncoloredILj256EiEEvT0_PKS1_PS1_.uses_vcc, 1
	.set _ZN9rocsparseL31csrcolor_kernel_count_uncoloredILj256EiEEvT0_PKS1_PS1_.uses_flat_scratch, 0
	.set _ZN9rocsparseL31csrcolor_kernel_count_uncoloredILj256EiEEvT0_PKS1_PS1_.has_dyn_sized_stack, 0
	.set _ZN9rocsparseL31csrcolor_kernel_count_uncoloredILj256EiEEvT0_PKS1_PS1_.has_recursion, 0
	.set _ZN9rocsparseL31csrcolor_kernel_count_uncoloredILj256EiEEvT0_PKS1_PS1_.has_indirect_call, 0
	.section	.AMDGPU.csdata,"",@progbits
; Kernel info:
; codeLenInByte = 656
; TotalNumSgprs: 18
; NumVgprs: 7
; ScratchSize: 0
; MemoryBound: 0
; FloatMode: 240
; IeeeMode: 1
; LDSByteSize: 1024 bytes/workgroup (compile time only)
; SGPRBlocks: 2
; VGPRBlocks: 1
; NumSGPRsForWavesPerEU: 18
; NumVGPRsForWavesPerEU: 7
; Occupancy: 10
; WaveLimiterHint : 0
; COMPUTE_PGM_RSRC2:SCRATCH_EN: 0
; COMPUTE_PGM_RSRC2:USER_SGPR: 6
; COMPUTE_PGM_RSRC2:TRAP_HANDLER: 0
; COMPUTE_PGM_RSRC2:TGID_X_EN: 1
; COMPUTE_PGM_RSRC2:TGID_Y_EN: 0
; COMPUTE_PGM_RSRC2:TGID_Z_EN: 0
; COMPUTE_PGM_RSRC2:TIDIG_COMP_CNT: 0
	.section	.text._ZN9rocsparseL40csrcolor_kernel_count_uncolored_finalizeILj256EiEEvPT0_,"axG",@progbits,_ZN9rocsparseL40csrcolor_kernel_count_uncolored_finalizeILj256EiEEvPT0_,comdat
	.globl	_ZN9rocsparseL40csrcolor_kernel_count_uncolored_finalizeILj256EiEEvPT0_ ; -- Begin function _ZN9rocsparseL40csrcolor_kernel_count_uncolored_finalizeILj256EiEEvPT0_
	.p2align	8
	.type	_ZN9rocsparseL40csrcolor_kernel_count_uncolored_finalizeILj256EiEEvPT0_,@function
_ZN9rocsparseL40csrcolor_kernel_count_uncolored_finalizeILj256EiEEvPT0_: ; @_ZN9rocsparseL40csrcolor_kernel_count_uncolored_finalizeILj256EiEEvPT0_
; %bb.0:
	s_load_dwordx2 s[0:1], s[4:5], 0x0
	v_lshlrev_b32_e32 v1, 2, v0
	s_movk_i32 s2, 0x80
	v_cmp_gt_u32_e32 vcc, s2, v0
	s_waitcnt lgkmcnt(0)
	global_load_dword v2, v1, s[0:1]
	s_waitcnt vmcnt(0)
	ds_write_b32 v1, v2
	s_waitcnt lgkmcnt(0)
	s_barrier
	s_and_saveexec_b64 s[2:3], vcc
	s_cbranch_execz .LBB2_2
; %bb.1:
	ds_read2st64_b32 v[2:3], v1 offset1:2
	s_waitcnt lgkmcnt(0)
	v_add_u32_e32 v2, v3, v2
	ds_write_b32 v1, v2
.LBB2_2:
	s_or_b64 exec, exec, s[2:3]
	v_cmp_gt_u32_e32 vcc, 64, v0
	s_waitcnt lgkmcnt(0)
	s_barrier
	s_and_saveexec_b64 s[2:3], vcc
	s_cbranch_execz .LBB2_4
; %bb.3:
	ds_read2st64_b32 v[2:3], v1 offset1:1
	s_waitcnt lgkmcnt(0)
	v_add_u32_e32 v2, v3, v2
	ds_write_b32 v1, v2
.LBB2_4:
	s_or_b64 exec, exec, s[2:3]
	v_cmp_gt_u32_e32 vcc, 32, v0
	s_waitcnt lgkmcnt(0)
	s_barrier
	s_and_saveexec_b64 s[2:3], vcc
	s_cbranch_execz .LBB2_6
; %bb.5:
	ds_read2_b32 v[2:3], v1 offset1:32
	s_waitcnt lgkmcnt(0)
	v_add_u32_e32 v2, v3, v2
	ds_write_b32 v1, v2
.LBB2_6:
	s_or_b64 exec, exec, s[2:3]
	v_cmp_gt_u32_e32 vcc, 16, v0
	s_waitcnt lgkmcnt(0)
	s_barrier
	s_and_saveexec_b64 s[2:3], vcc
	s_cbranch_execz .LBB2_8
; %bb.7:
	ds_read2_b32 v[2:3], v1 offset1:16
	s_waitcnt lgkmcnt(0)
	v_add_u32_e32 v2, v3, v2
	ds_write_b32 v1, v2
.LBB2_8:
	;; [unrolled: 12-line block ×5, first 2 shown]
	s_or_b64 exec, exec, s[2:3]
	v_cmp_eq_u32_e32 vcc, 0, v0
	s_waitcnt lgkmcnt(0)
	s_barrier
	s_and_saveexec_b64 s[2:3], vcc
	s_cbranch_execz .LBB2_16
; %bb.15:
	v_mov_b32_e32 v2, 0
	ds_read_b64 v[0:1], v2
	s_waitcnt lgkmcnt(0)
	v_add_u32_e32 v0, v1, v0
	ds_write_b32 v2, v0
.LBB2_16:
	s_or_b64 exec, exec, s[2:3]
	s_waitcnt lgkmcnt(0)
	s_barrier
	s_and_saveexec_b64 s[2:3], vcc
	s_cbranch_execz .LBB2_18
; %bb.17:
	v_mov_b32_e32 v0, 0
	ds_read_b32 v1, v0
	s_waitcnt lgkmcnt(0)
	global_store_dword v0, v1, s[0:1]
.LBB2_18:
	s_endpgm
	.section	.rodata,"a",@progbits
	.p2align	6, 0x0
	.amdhsa_kernel _ZN9rocsparseL40csrcolor_kernel_count_uncolored_finalizeILj256EiEEvPT0_
		.amdhsa_group_segment_fixed_size 1024
		.amdhsa_private_segment_fixed_size 0
		.amdhsa_kernarg_size 8
		.amdhsa_user_sgpr_count 6
		.amdhsa_user_sgpr_private_segment_buffer 1
		.amdhsa_user_sgpr_dispatch_ptr 0
		.amdhsa_user_sgpr_queue_ptr 0
		.amdhsa_user_sgpr_kernarg_segment_ptr 1
		.amdhsa_user_sgpr_dispatch_id 0
		.amdhsa_user_sgpr_flat_scratch_init 0
		.amdhsa_user_sgpr_private_segment_size 0
		.amdhsa_uses_dynamic_stack 0
		.amdhsa_system_sgpr_private_segment_wavefront_offset 0
		.amdhsa_system_sgpr_workgroup_id_x 1
		.amdhsa_system_sgpr_workgroup_id_y 0
		.amdhsa_system_sgpr_workgroup_id_z 0
		.amdhsa_system_sgpr_workgroup_info 0
		.amdhsa_system_vgpr_workitem_id 0
		.amdhsa_next_free_vgpr 4
		.amdhsa_next_free_sgpr 6
		.amdhsa_reserve_vcc 1
		.amdhsa_reserve_flat_scratch 0
		.amdhsa_float_round_mode_32 0
		.amdhsa_float_round_mode_16_64 0
		.amdhsa_float_denorm_mode_32 3
		.amdhsa_float_denorm_mode_16_64 3
		.amdhsa_dx10_clamp 1
		.amdhsa_ieee_mode 1
		.amdhsa_fp16_overflow 0
		.amdhsa_exception_fp_ieee_invalid_op 0
		.amdhsa_exception_fp_denorm_src 0
		.amdhsa_exception_fp_ieee_div_zero 0
		.amdhsa_exception_fp_ieee_overflow 0
		.amdhsa_exception_fp_ieee_underflow 0
		.amdhsa_exception_fp_ieee_inexact 0
		.amdhsa_exception_int_div_zero 0
	.end_amdhsa_kernel
	.section	.text._ZN9rocsparseL40csrcolor_kernel_count_uncolored_finalizeILj256EiEEvPT0_,"axG",@progbits,_ZN9rocsparseL40csrcolor_kernel_count_uncolored_finalizeILj256EiEEvPT0_,comdat
.Lfunc_end2:
	.size	_ZN9rocsparseL40csrcolor_kernel_count_uncolored_finalizeILj256EiEEvPT0_, .Lfunc_end2-_ZN9rocsparseL40csrcolor_kernel_count_uncolored_finalizeILj256EiEEvPT0_
                                        ; -- End function
	.set _ZN9rocsparseL40csrcolor_kernel_count_uncolored_finalizeILj256EiEEvPT0_.num_vgpr, 4
	.set _ZN9rocsparseL40csrcolor_kernel_count_uncolored_finalizeILj256EiEEvPT0_.num_agpr, 0
	.set _ZN9rocsparseL40csrcolor_kernel_count_uncolored_finalizeILj256EiEEvPT0_.numbered_sgpr, 6
	.set _ZN9rocsparseL40csrcolor_kernel_count_uncolored_finalizeILj256EiEEvPT0_.num_named_barrier, 0
	.set _ZN9rocsparseL40csrcolor_kernel_count_uncolored_finalizeILj256EiEEvPT0_.private_seg_size, 0
	.set _ZN9rocsparseL40csrcolor_kernel_count_uncolored_finalizeILj256EiEEvPT0_.uses_vcc, 1
	.set _ZN9rocsparseL40csrcolor_kernel_count_uncolored_finalizeILj256EiEEvPT0_.uses_flat_scratch, 0
	.set _ZN9rocsparseL40csrcolor_kernel_count_uncolored_finalizeILj256EiEEvPT0_.has_dyn_sized_stack, 0
	.set _ZN9rocsparseL40csrcolor_kernel_count_uncolored_finalizeILj256EiEEvPT0_.has_recursion, 0
	.set _ZN9rocsparseL40csrcolor_kernel_count_uncolored_finalizeILj256EiEEvPT0_.has_indirect_call, 0
	.section	.AMDGPU.csdata,"",@progbits
; Kernel info:
; codeLenInByte = 472
; TotalNumSgprs: 10
; NumVgprs: 4
; ScratchSize: 0
; MemoryBound: 0
; FloatMode: 240
; IeeeMode: 1
; LDSByteSize: 1024 bytes/workgroup (compile time only)
; SGPRBlocks: 1
; VGPRBlocks: 0
; NumSGPRsForWavesPerEU: 10
; NumVGPRsForWavesPerEU: 4
; Occupancy: 10
; WaveLimiterHint : 0
; COMPUTE_PGM_RSRC2:SCRATCH_EN: 0
; COMPUTE_PGM_RSRC2:USER_SGPR: 6
; COMPUTE_PGM_RSRC2:TRAP_HANDLER: 0
; COMPUTE_PGM_RSRC2:TGID_X_EN: 1
; COMPUTE_PGM_RSRC2:TGID_Y_EN: 0
; COMPUTE_PGM_RSRC2:TGID_Z_EN: 0
; COMPUTE_PGM_RSRC2:TIDIG_COMP_CNT: 0
	.section	.text._ZN9rocsparseL28csrcolor_kernel_count_colorsILj256EiEEvT0_PKS1_PS1_,"axG",@progbits,_ZN9rocsparseL28csrcolor_kernel_count_colorsILj256EiEEvT0_PKS1_PS1_,comdat
	.globl	_ZN9rocsparseL28csrcolor_kernel_count_colorsILj256EiEEvT0_PKS1_PS1_ ; -- Begin function _ZN9rocsparseL28csrcolor_kernel_count_colorsILj256EiEEvT0_PKS1_PS1_
	.p2align	8
	.type	_ZN9rocsparseL28csrcolor_kernel_count_colorsILj256EiEEvT0_PKS1_PS1_,@function
_ZN9rocsparseL28csrcolor_kernel_count_colorsILj256EiEEvT0_PKS1_PS1_: ; @_ZN9rocsparseL28csrcolor_kernel_count_colorsILj256EiEEvT0_PKS1_PS1_
; %bb.0:
	s_load_dword s2, s[4:5], 0x24
	s_load_dword s7, s[4:5], 0x0
	s_load_dwordx2 s[0:1], s[4:5], 0x10
	s_add_u32 s8, s4, 24
	s_addc_u32 s9, s5, 0
	s_waitcnt lgkmcnt(0)
	s_and_b32 s10, s2, 0xffff
	s_mul_i32 s2, s6, s10
	v_add_u32_e32 v1, s2, v0
	v_cmp_gt_i32_e32 vcc, s7, v1
	v_mov_b32_e32 v4, 0
	s_and_saveexec_b64 s[2:3], vcc
	s_cbranch_execz .LBB3_4
; %bb.1:
	s_load_dword s11, s[8:9], 0x0
	s_load_dwordx2 s[12:13], s[4:5], 0x8
	v_ashrrev_i32_e32 v2, 31, v1
	v_lshlrev_b64 v[2:3], 2, v[1:2]
	s_waitcnt lgkmcnt(0)
	s_mul_i32 s4, s11, s10
	s_ashr_i32 s5, s4, 31
	v_mov_b32_e32 v4, s13
	v_add_co_u32_e32 v2, vcc, s12, v2
	s_lshl_b64 s[8:9], s[4:5], 2
	v_addc_co_u32_e32 v3, vcc, v4, v3, vcc
	v_mov_b32_e32 v4, 0
	s_mov_b64 s[10:11], 0
	v_mov_b32_e32 v5, s9
.LBB3_2:                                ; =>This Inner Loop Header: Depth=1
	global_load_dword v6, v[2:3], off
	v_add_co_u32_e32 v2, vcc, s8, v2
	v_add_u32_e32 v1, s4, v1
	v_addc_co_u32_e32 v3, vcc, v3, v5, vcc
	v_cmp_le_i32_e32 vcc, s7, v1
	s_or_b64 s[10:11], vcc, s[10:11]
	s_waitcnt vmcnt(0)
	v_max_i32_e32 v4, v6, v4
	s_andn2_b64 exec, exec, s[10:11]
	s_cbranch_execnz .LBB3_2
; %bb.3:
	s_or_b64 exec, exec, s[10:11]
.LBB3_4:
	s_or_b64 exec, exec, s[2:3]
	s_movk_i32 s2, 0x80
	v_lshlrev_b32_e32 v1, 2, v0
	v_cmp_gt_u32_e32 vcc, s2, v0
	ds_write_b32 v1, v4
	s_waitcnt lgkmcnt(0)
	s_barrier
	s_and_saveexec_b64 s[2:3], vcc
	s_cbranch_execz .LBB3_6
; %bb.5:
	ds_read2st64_b32 v[2:3], v1 offset1:2
	s_waitcnt lgkmcnt(0)
	v_max_i32_e32 v2, v2, v3
	ds_write_b32 v1, v2
.LBB3_6:
	s_or_b64 exec, exec, s[2:3]
	v_cmp_gt_u32_e32 vcc, 64, v0
	s_waitcnt lgkmcnt(0)
	s_barrier
	s_and_saveexec_b64 s[2:3], vcc
	s_cbranch_execz .LBB3_8
; %bb.7:
	ds_read2st64_b32 v[2:3], v1 offset1:1
	s_waitcnt lgkmcnt(0)
	v_max_i32_e32 v2, v2, v3
	ds_write_b32 v1, v2
.LBB3_8:
	s_or_b64 exec, exec, s[2:3]
	v_cmp_gt_u32_e32 vcc, 32, v0
	s_waitcnt lgkmcnt(0)
	s_barrier
	s_and_saveexec_b64 s[2:3], vcc
	s_cbranch_execz .LBB3_10
; %bb.9:
	ds_read2_b32 v[2:3], v1 offset1:32
	s_waitcnt lgkmcnt(0)
	v_max_i32_e32 v2, v2, v3
	ds_write_b32 v1, v2
.LBB3_10:
	s_or_b64 exec, exec, s[2:3]
	v_cmp_gt_u32_e32 vcc, 16, v0
	s_waitcnt lgkmcnt(0)
	s_barrier
	s_and_saveexec_b64 s[2:3], vcc
	s_cbranch_execz .LBB3_12
; %bb.11:
	ds_read2_b32 v[2:3], v1 offset1:16
	s_waitcnt lgkmcnt(0)
	v_max_i32_e32 v2, v2, v3
	ds_write_b32 v1, v2
.LBB3_12:
	s_or_b64 exec, exec, s[2:3]
	v_cmp_gt_u32_e32 vcc, 8, v0
	s_waitcnt lgkmcnt(0)
	s_barrier
	s_and_saveexec_b64 s[2:3], vcc
	s_cbranch_execz .LBB3_14
; %bb.13:
	ds_read2_b32 v[2:3], v1 offset1:8
	s_waitcnt lgkmcnt(0)
	v_max_i32_e32 v2, v2, v3
	ds_write_b32 v1, v2
.LBB3_14:
	s_or_b64 exec, exec, s[2:3]
	v_cmp_gt_u32_e32 vcc, 4, v0
	s_waitcnt lgkmcnt(0)
	s_barrier
	s_and_saveexec_b64 s[2:3], vcc
	s_cbranch_execz .LBB3_16
; %bb.15:
	ds_read2_b32 v[2:3], v1 offset1:4
	s_waitcnt lgkmcnt(0)
	v_max_i32_e32 v2, v2, v3
	ds_write_b32 v1, v2
.LBB3_16:
	s_or_b64 exec, exec, s[2:3]
	v_cmp_gt_u32_e32 vcc, 2, v0
	s_waitcnt lgkmcnt(0)
	s_barrier
	s_and_saveexec_b64 s[2:3], vcc
	s_cbranch_execz .LBB3_18
; %bb.17:
	ds_read2_b32 v[2:3], v1 offset1:2
	s_waitcnt lgkmcnt(0)
	v_max_i32_e32 v2, v2, v3
	ds_write_b32 v1, v2
.LBB3_18:
	s_or_b64 exec, exec, s[2:3]
	v_cmp_eq_u32_e32 vcc, 0, v0
	s_waitcnt lgkmcnt(0)
	s_barrier
	s_and_saveexec_b64 s[2:3], vcc
	s_cbranch_execz .LBB3_20
; %bb.19:
	v_mov_b32_e32 v2, 0
	ds_read_b64 v[0:1], v2
	s_waitcnt lgkmcnt(0)
	v_max_i32_e32 v0, v0, v1
	ds_write_b32 v2, v0
.LBB3_20:
	s_or_b64 exec, exec, s[2:3]
	s_waitcnt lgkmcnt(0)
	s_barrier
	s_and_saveexec_b64 s[2:3], vcc
	s_cbranch_execz .LBB3_22
; %bb.21:
	v_mov_b32_e32 v0, 0
	ds_read_b32 v1, v0
	s_mov_b32 s7, 0
	s_lshl_b64 s[2:3], s[6:7], 2
	s_add_u32 s0, s0, s2
	s_addc_u32 s1, s1, s3
	s_waitcnt lgkmcnt(0)
	global_store_dword v0, v1, s[0:1]
.LBB3_22:
	s_endpgm
	.section	.rodata,"a",@progbits
	.p2align	6, 0x0
	.amdhsa_kernel _ZN9rocsparseL28csrcolor_kernel_count_colorsILj256EiEEvT0_PKS1_PS1_
		.amdhsa_group_segment_fixed_size 1024
		.amdhsa_private_segment_fixed_size 0
		.amdhsa_kernarg_size 280
		.amdhsa_user_sgpr_count 6
		.amdhsa_user_sgpr_private_segment_buffer 1
		.amdhsa_user_sgpr_dispatch_ptr 0
		.amdhsa_user_sgpr_queue_ptr 0
		.amdhsa_user_sgpr_kernarg_segment_ptr 1
		.amdhsa_user_sgpr_dispatch_id 0
		.amdhsa_user_sgpr_flat_scratch_init 0
		.amdhsa_user_sgpr_private_segment_size 0
		.amdhsa_uses_dynamic_stack 0
		.amdhsa_system_sgpr_private_segment_wavefront_offset 0
		.amdhsa_system_sgpr_workgroup_id_x 1
		.amdhsa_system_sgpr_workgroup_id_y 0
		.amdhsa_system_sgpr_workgroup_id_z 0
		.amdhsa_system_sgpr_workgroup_info 0
		.amdhsa_system_vgpr_workitem_id 0
		.amdhsa_next_free_vgpr 7
		.amdhsa_next_free_sgpr 14
		.amdhsa_reserve_vcc 1
		.amdhsa_reserve_flat_scratch 0
		.amdhsa_float_round_mode_32 0
		.amdhsa_float_round_mode_16_64 0
		.amdhsa_float_denorm_mode_32 3
		.amdhsa_float_denorm_mode_16_64 3
		.amdhsa_dx10_clamp 1
		.amdhsa_ieee_mode 1
		.amdhsa_fp16_overflow 0
		.amdhsa_exception_fp_ieee_invalid_op 0
		.amdhsa_exception_fp_denorm_src 0
		.amdhsa_exception_fp_ieee_div_zero 0
		.amdhsa_exception_fp_ieee_overflow 0
		.amdhsa_exception_fp_ieee_underflow 0
		.amdhsa_exception_fp_ieee_inexact 0
		.amdhsa_exception_int_div_zero 0
	.end_amdhsa_kernel
	.section	.text._ZN9rocsparseL28csrcolor_kernel_count_colorsILj256EiEEvT0_PKS1_PS1_,"axG",@progbits,_ZN9rocsparseL28csrcolor_kernel_count_colorsILj256EiEEvT0_PKS1_PS1_,comdat
.Lfunc_end3:
	.size	_ZN9rocsparseL28csrcolor_kernel_count_colorsILj256EiEEvT0_PKS1_PS1_, .Lfunc_end3-_ZN9rocsparseL28csrcolor_kernel_count_colorsILj256EiEEvT0_PKS1_PS1_
                                        ; -- End function
	.set _ZN9rocsparseL28csrcolor_kernel_count_colorsILj256EiEEvT0_PKS1_PS1_.num_vgpr, 7
	.set _ZN9rocsparseL28csrcolor_kernel_count_colorsILj256EiEEvT0_PKS1_PS1_.num_agpr, 0
	.set _ZN9rocsparseL28csrcolor_kernel_count_colorsILj256EiEEvT0_PKS1_PS1_.numbered_sgpr, 14
	.set _ZN9rocsparseL28csrcolor_kernel_count_colorsILj256EiEEvT0_PKS1_PS1_.num_named_barrier, 0
	.set _ZN9rocsparseL28csrcolor_kernel_count_colorsILj256EiEEvT0_PKS1_PS1_.private_seg_size, 0
	.set _ZN9rocsparseL28csrcolor_kernel_count_colorsILj256EiEEvT0_PKS1_PS1_.uses_vcc, 1
	.set _ZN9rocsparseL28csrcolor_kernel_count_colorsILj256EiEEvT0_PKS1_PS1_.uses_flat_scratch, 0
	.set _ZN9rocsparseL28csrcolor_kernel_count_colorsILj256EiEEvT0_PKS1_PS1_.has_dyn_sized_stack, 0
	.set _ZN9rocsparseL28csrcolor_kernel_count_colorsILj256EiEEvT0_PKS1_PS1_.has_recursion, 0
	.set _ZN9rocsparseL28csrcolor_kernel_count_colorsILj256EiEEvT0_PKS1_PS1_.has_indirect_call, 0
	.section	.AMDGPU.csdata,"",@progbits
; Kernel info:
; codeLenInByte = 652
; TotalNumSgprs: 18
; NumVgprs: 7
; ScratchSize: 0
; MemoryBound: 0
; FloatMode: 240
; IeeeMode: 1
; LDSByteSize: 1024 bytes/workgroup (compile time only)
; SGPRBlocks: 2
; VGPRBlocks: 1
; NumSGPRsForWavesPerEU: 18
; NumVGPRsForWavesPerEU: 7
; Occupancy: 10
; WaveLimiterHint : 0
; COMPUTE_PGM_RSRC2:SCRATCH_EN: 0
; COMPUTE_PGM_RSRC2:USER_SGPR: 6
; COMPUTE_PGM_RSRC2:TRAP_HANDLER: 0
; COMPUTE_PGM_RSRC2:TGID_X_EN: 1
; COMPUTE_PGM_RSRC2:TGID_Y_EN: 0
; COMPUTE_PGM_RSRC2:TGID_Z_EN: 0
; COMPUTE_PGM_RSRC2:TIDIG_COMP_CNT: 0
	.section	.text._ZN9rocsparseL37csrcolor_kernel_count_colors_finalizeILj256EiEEvPT0_,"axG",@progbits,_ZN9rocsparseL37csrcolor_kernel_count_colors_finalizeILj256EiEEvPT0_,comdat
	.globl	_ZN9rocsparseL37csrcolor_kernel_count_colors_finalizeILj256EiEEvPT0_ ; -- Begin function _ZN9rocsparseL37csrcolor_kernel_count_colors_finalizeILj256EiEEvPT0_
	.p2align	8
	.type	_ZN9rocsparseL37csrcolor_kernel_count_colors_finalizeILj256EiEEvPT0_,@function
_ZN9rocsparseL37csrcolor_kernel_count_colors_finalizeILj256EiEEvPT0_: ; @_ZN9rocsparseL37csrcolor_kernel_count_colors_finalizeILj256EiEEvPT0_
; %bb.0:
	s_load_dwordx2 s[0:1], s[4:5], 0x0
	v_lshlrev_b32_e32 v1, 2, v0
	s_movk_i32 s2, 0x80
	v_cmp_gt_u32_e32 vcc, s2, v0
	s_waitcnt lgkmcnt(0)
	global_load_dword v2, v1, s[0:1]
	s_waitcnt vmcnt(0)
	ds_write_b32 v1, v2
	s_waitcnt lgkmcnt(0)
	s_barrier
	s_and_saveexec_b64 s[2:3], vcc
	s_cbranch_execz .LBB4_2
; %bb.1:
	ds_read2st64_b32 v[2:3], v1 offset1:2
	s_waitcnt lgkmcnt(0)
	v_max_i32_e32 v2, v2, v3
	ds_write_b32 v1, v2
.LBB4_2:
	s_or_b64 exec, exec, s[2:3]
	v_cmp_gt_u32_e32 vcc, 64, v0
	s_waitcnt lgkmcnt(0)
	s_barrier
	s_and_saveexec_b64 s[2:3], vcc
	s_cbranch_execz .LBB4_4
; %bb.3:
	ds_read2st64_b32 v[2:3], v1 offset1:1
	s_waitcnt lgkmcnt(0)
	v_max_i32_e32 v2, v2, v3
	ds_write_b32 v1, v2
.LBB4_4:
	s_or_b64 exec, exec, s[2:3]
	v_cmp_gt_u32_e32 vcc, 32, v0
	s_waitcnt lgkmcnt(0)
	s_barrier
	s_and_saveexec_b64 s[2:3], vcc
	s_cbranch_execz .LBB4_6
; %bb.5:
	ds_read2_b32 v[2:3], v1 offset1:32
	s_waitcnt lgkmcnt(0)
	v_max_i32_e32 v2, v2, v3
	ds_write_b32 v1, v2
.LBB4_6:
	s_or_b64 exec, exec, s[2:3]
	v_cmp_gt_u32_e32 vcc, 16, v0
	s_waitcnt lgkmcnt(0)
	s_barrier
	s_and_saveexec_b64 s[2:3], vcc
	s_cbranch_execz .LBB4_8
; %bb.7:
	ds_read2_b32 v[2:3], v1 offset1:16
	s_waitcnt lgkmcnt(0)
	v_max_i32_e32 v2, v2, v3
	ds_write_b32 v1, v2
.LBB4_8:
	;; [unrolled: 12-line block ×5, first 2 shown]
	s_or_b64 exec, exec, s[2:3]
	v_cmp_eq_u32_e32 vcc, 0, v0
	s_waitcnt lgkmcnt(0)
	s_barrier
	s_and_saveexec_b64 s[2:3], vcc
	s_cbranch_execz .LBB4_16
; %bb.15:
	v_mov_b32_e32 v2, 0
	ds_read_b64 v[0:1], v2
	s_waitcnt lgkmcnt(0)
	v_max_i32_e32 v0, v0, v1
	ds_write_b32 v2, v0
.LBB4_16:
	s_or_b64 exec, exec, s[2:3]
	s_waitcnt lgkmcnt(0)
	s_barrier
	s_and_saveexec_b64 s[2:3], vcc
	s_cbranch_execz .LBB4_18
; %bb.17:
	v_mov_b32_e32 v0, 0
	ds_read_b32 v1, v0
	s_waitcnt lgkmcnt(0)
	global_store_dword v0, v1, s[0:1]
.LBB4_18:
	s_endpgm
	.section	.rodata,"a",@progbits
	.p2align	6, 0x0
	.amdhsa_kernel _ZN9rocsparseL37csrcolor_kernel_count_colors_finalizeILj256EiEEvPT0_
		.amdhsa_group_segment_fixed_size 1024
		.amdhsa_private_segment_fixed_size 0
		.amdhsa_kernarg_size 8
		.amdhsa_user_sgpr_count 6
		.amdhsa_user_sgpr_private_segment_buffer 1
		.amdhsa_user_sgpr_dispatch_ptr 0
		.amdhsa_user_sgpr_queue_ptr 0
		.amdhsa_user_sgpr_kernarg_segment_ptr 1
		.amdhsa_user_sgpr_dispatch_id 0
		.amdhsa_user_sgpr_flat_scratch_init 0
		.amdhsa_user_sgpr_private_segment_size 0
		.amdhsa_uses_dynamic_stack 0
		.amdhsa_system_sgpr_private_segment_wavefront_offset 0
		.amdhsa_system_sgpr_workgroup_id_x 1
		.amdhsa_system_sgpr_workgroup_id_y 0
		.amdhsa_system_sgpr_workgroup_id_z 0
		.amdhsa_system_sgpr_workgroup_info 0
		.amdhsa_system_vgpr_workitem_id 0
		.amdhsa_next_free_vgpr 4
		.amdhsa_next_free_sgpr 6
		.amdhsa_reserve_vcc 1
		.amdhsa_reserve_flat_scratch 0
		.amdhsa_float_round_mode_32 0
		.amdhsa_float_round_mode_16_64 0
		.amdhsa_float_denorm_mode_32 3
		.amdhsa_float_denorm_mode_16_64 3
		.amdhsa_dx10_clamp 1
		.amdhsa_ieee_mode 1
		.amdhsa_fp16_overflow 0
		.amdhsa_exception_fp_ieee_invalid_op 0
		.amdhsa_exception_fp_denorm_src 0
		.amdhsa_exception_fp_ieee_div_zero 0
		.amdhsa_exception_fp_ieee_overflow 0
		.amdhsa_exception_fp_ieee_underflow 0
		.amdhsa_exception_fp_ieee_inexact 0
		.amdhsa_exception_int_div_zero 0
	.end_amdhsa_kernel
	.section	.text._ZN9rocsparseL37csrcolor_kernel_count_colors_finalizeILj256EiEEvPT0_,"axG",@progbits,_ZN9rocsparseL37csrcolor_kernel_count_colors_finalizeILj256EiEEvPT0_,comdat
.Lfunc_end4:
	.size	_ZN9rocsparseL37csrcolor_kernel_count_colors_finalizeILj256EiEEvPT0_, .Lfunc_end4-_ZN9rocsparseL37csrcolor_kernel_count_colors_finalizeILj256EiEEvPT0_
                                        ; -- End function
	.set _ZN9rocsparseL37csrcolor_kernel_count_colors_finalizeILj256EiEEvPT0_.num_vgpr, 4
	.set _ZN9rocsparseL37csrcolor_kernel_count_colors_finalizeILj256EiEEvPT0_.num_agpr, 0
	.set _ZN9rocsparseL37csrcolor_kernel_count_colors_finalizeILj256EiEEvPT0_.numbered_sgpr, 6
	.set _ZN9rocsparseL37csrcolor_kernel_count_colors_finalizeILj256EiEEvPT0_.num_named_barrier, 0
	.set _ZN9rocsparseL37csrcolor_kernel_count_colors_finalizeILj256EiEEvPT0_.private_seg_size, 0
	.set _ZN9rocsparseL37csrcolor_kernel_count_colors_finalizeILj256EiEEvPT0_.uses_vcc, 1
	.set _ZN9rocsparseL37csrcolor_kernel_count_colors_finalizeILj256EiEEvPT0_.uses_flat_scratch, 0
	.set _ZN9rocsparseL37csrcolor_kernel_count_colors_finalizeILj256EiEEvPT0_.has_dyn_sized_stack, 0
	.set _ZN9rocsparseL37csrcolor_kernel_count_colors_finalizeILj256EiEEvPT0_.has_recursion, 0
	.set _ZN9rocsparseL37csrcolor_kernel_count_colors_finalizeILj256EiEEvPT0_.has_indirect_call, 0
	.section	.AMDGPU.csdata,"",@progbits
; Kernel info:
; codeLenInByte = 472
; TotalNumSgprs: 10
; NumVgprs: 4
; ScratchSize: 0
; MemoryBound: 0
; FloatMode: 240
; IeeeMode: 1
; LDSByteSize: 1024 bytes/workgroup (compile time only)
; SGPRBlocks: 1
; VGPRBlocks: 0
; NumSGPRsForWavesPerEU: 10
; NumVGPRsForWavesPerEU: 4
; Occupancy: 10
; WaveLimiterHint : 0
; COMPUTE_PGM_RSRC2:SCRATCH_EN: 0
; COMPUTE_PGM_RSRC2:USER_SGPR: 6
; COMPUTE_PGM_RSRC2:TRAP_HANDLER: 0
; COMPUTE_PGM_RSRC2:TGID_X_EN: 1
; COMPUTE_PGM_RSRC2:TGID_Y_EN: 0
; COMPUTE_PGM_RSRC2:TGID_Z_EN: 0
; COMPUTE_PGM_RSRC2:TIDIG_COMP_CNT: 0
	.section	.text._ZN9rocsparseL15count_uncoloredILi256EiEEvT0_S1_S1_PKS1_PS1_,"axG",@progbits,_ZN9rocsparseL15count_uncoloredILi256EiEEvT0_S1_S1_PKS1_PS1_,comdat
	.globl	_ZN9rocsparseL15count_uncoloredILi256EiEEvT0_S1_S1_PKS1_PS1_ ; -- Begin function _ZN9rocsparseL15count_uncoloredILi256EiEEvT0_S1_S1_PKS1_PS1_
	.p2align	8
	.type	_ZN9rocsparseL15count_uncoloredILi256EiEEvT0_S1_S1_PKS1_PS1_,@function
_ZN9rocsparseL15count_uncoloredILi256EiEEvT0_S1_S1_PKS1_PS1_: ; @_ZN9rocsparseL15count_uncoloredILi256EiEEvT0_S1_S1_PKS1_PS1_
; %bb.0:
	s_load_dword s7, s[4:5], 0x4
	s_load_dwordx4 s[0:3], s[4:5], 0x10
	v_mov_b32_e32 v5, 0
	s_waitcnt lgkmcnt(0)
	v_cmp_gt_i32_e32 vcc, s7, v0
	s_mul_i32 s5, s7, s6
	v_cndmask_b32_e32 v1, 0, v0, vcc
	s_ashr_i32 s4, s7, 31
	v_add_u32_e32 v1, s5, v1
	s_lshr_b32 s4, s4, 24
	v_ashrrev_i32_e32 v2, 31, v1
	s_add_i32 s4, s7, s4
	v_lshlrev_b64 v[1:2], 2, v[1:2]
	s_and_b32 s4, s4, 0xffffff00
	v_mov_b32_e32 v3, s1
	v_add_co_u32_e32 v1, vcc, s0, v1
	s_cmpk_lt_i32 s7, 0x100
	v_addc_co_u32_e32 v2, vcc, v3, v2, vcc
	s_cselect_b64 s[0:1], -1, 0
	s_and_b64 vcc, exec, s[0:1]
	s_cbranch_vccnz .LBB5_3
; %bb.1:
	v_mov_b32_e32 v4, v2
	s_mov_b32 s5, 0
	v_mov_b32_e32 v5, 0
	v_mov_b32_e32 v3, v1
.LBB5_2:                                ; =>This Inner Loop Header: Depth=1
	global_load_dword v6, v[3:4], off
	v_add_co_u32_e32 v3, vcc, 0x400, v3
	v_addc_co_u32_e32 v4, vcc, 0, v4, vcc
	s_addk_i32 s5, 0x100
	s_cmp_ge_i32 s5, s4
	s_waitcnt vmcnt(0)
	v_cmp_eq_u32_e32 vcc, -1, v6
	v_addc_co_u32_e32 v5, vcc, 0, v5, vcc
	s_cbranch_scc0 .LBB5_2
.LBB5_3:
	v_add_u32_e32 v3, s4, v0
	v_cmp_gt_i32_e32 vcc, s7, v3
	s_and_saveexec_b64 s[8:9], vcc
	s_cbranch_execz .LBB5_5
; %bb.4:
	s_ashr_i32 s5, s4, 31
	s_lshl_b64 s[4:5], s[4:5], 2
	v_mov_b32_e32 v3, s5
	v_add_co_u32_e32 v1, vcc, s4, v1
	v_addc_co_u32_e32 v2, vcc, v2, v3, vcc
	global_load_dword v1, v[1:2], off
	s_waitcnt vmcnt(0)
	v_cmp_eq_u32_e32 vcc, -1, v1
	v_addc_co_u32_e32 v5, vcc, 0, v5, vcc
.LBB5_5:
	s_or_b64 exec, exec, s[8:9]
	v_lshlrev_b32_e32 v1, 2, v0
	s_mov_b64 s[4:5], -1
	s_and_b64 vcc, exec, s[0:1]
	v_cmp_eq_u32_e64 s[0:1], 0, v0
	ds_write_b32 v1, v5
	s_waitcnt lgkmcnt(0)
	s_cbranch_vccnz .LBB5_9
; %bb.6:
	s_and_b64 vcc, exec, s[4:5]
	s_cbranch_vccnz .LBB5_19
.LBB5_7:
	v_cmp_eq_u32_e32 vcc, 0, v0
	s_and_saveexec_b64 s[0:1], vcc
	s_cbranch_execnz .LBB5_36
.LBB5_8:
	s_endpgm
.LBB5_9:
	s_cmp_gt_i32 s7, 1
	s_cselect_b64 s[8:9], -1, 0
	s_mov_b32 s5, 1
	s_and_b64 s[8:9], s[0:1], s[8:9]
	s_barrier
	s_and_saveexec_b64 s[0:1], s[8:9]
	s_cbranch_execz .LBB5_18
; %bb.10:
	v_mov_b32_e32 v2, 0
	ds_read_b32 v2, v2
	s_add_i32 s4, s7, -1
	s_add_i32 s7, s7, -2
	s_cmp_lt_u32 s7, 7
	s_cbranch_scc1 .LBB5_14
; %bb.11:
	s_and_b32 s5, s4, -8
	s_mov_b32 s8, 0
	s_mov_b32 s7, 4
.LBB5_12:                               ; =>This Inner Loop Header: Depth=1
	v_mov_b32_e32 v9, s7
	ds_read2_b32 v[3:4], v9 offset1:1
	ds_read2_b32 v[5:6], v9 offset0:2 offset1:3
	ds_read2_b32 v[7:8], v9 offset0:4 offset1:5
	;; [unrolled: 1-line block ×3, first 2 shown]
	s_mov_b32 s9, s8
	s_waitcnt lgkmcnt(3)
	v_add_u32_e32 v2, v2, v3
	v_add_u32_e32 v2, v2, v4
	s_waitcnt lgkmcnt(2)
	v_add_u32_e32 v2, v2, v5
	v_add_u32_e32 v2, v2, v6
	;; [unrolled: 3-line block ×3, first 2 shown]
	s_add_i32 s7, s7, 32
	s_add_i32 s8, s8, 8
	s_waitcnt lgkmcnt(0)
	v_add_u32_e32 v2, v2, v9
	s_cmp_lg_u32 s5, s8
	v_add_u32_e32 v2, v2, v10
	s_cbranch_scc1 .LBB5_12
; %bb.13:
	s_add_i32 s5, s9, 9
.LBB5_14:
	s_and_b32 s4, s4, 7
	s_cmp_eq_u32 s4, 0
	s_cbranch_scc1 .LBB5_17
; %bb.15:
	s_lshl_b32 s5, s5, 2
.LBB5_16:                               ; =>This Inner Loop Header: Depth=1
	v_mov_b32_e32 v3, s5
	ds_read_b32 v3, v3
	s_add_i32 s5, s5, 4
	s_add_i32 s4, s4, -1
	s_cmp_lg_u32 s4, 0
	s_waitcnt lgkmcnt(0)
	v_add_u32_e32 v2, v2, v3
	s_cbranch_scc1 .LBB5_16
.LBB5_17:
	v_mov_b32_e32 v3, 0
	s_waitcnt lgkmcnt(0)
	ds_write_b32 v3, v2
.LBB5_18:
	s_or_b64 exec, exec, s[0:1]
	s_waitcnt lgkmcnt(0)
	s_barrier
	s_branch .LBB5_7
.LBB5_19:
	s_movk_i32 s0, 0x80
	v_cmp_gt_u32_e32 vcc, s0, v0
	s_barrier
	s_and_saveexec_b64 s[0:1], vcc
	s_cbranch_execz .LBB5_21
; %bb.20:
	ds_read2st64_b32 v[2:3], v1 offset1:2
	s_waitcnt lgkmcnt(0)
	v_add_u32_e32 v2, v2, v3
	ds_write_b32 v1, v2
.LBB5_21:
	s_or_b64 exec, exec, s[0:1]
	v_cmp_gt_u32_e32 vcc, 64, v0
	s_waitcnt lgkmcnt(0)
	s_barrier
	s_and_saveexec_b64 s[0:1], vcc
	s_cbranch_execz .LBB5_23
; %bb.22:
	ds_read2st64_b32 v[2:3], v1 offset1:1
	s_waitcnt lgkmcnt(0)
	v_add_u32_e32 v2, v2, v3
	ds_write_b32 v1, v2
.LBB5_23:
	s_or_b64 exec, exec, s[0:1]
	v_cmp_gt_u32_e32 vcc, 32, v0
	s_waitcnt lgkmcnt(0)
	s_barrier
	s_and_saveexec_b64 s[0:1], vcc
	s_cbranch_execz .LBB5_25
; %bb.24:
	ds_read2_b32 v[2:3], v1 offset1:32
	s_waitcnt lgkmcnt(0)
	v_add_u32_e32 v2, v2, v3
	ds_write_b32 v1, v2
.LBB5_25:
	s_or_b64 exec, exec, s[0:1]
	v_cmp_gt_u32_e32 vcc, 16, v0
	s_waitcnt lgkmcnt(0)
	s_barrier
	s_and_saveexec_b64 s[0:1], vcc
	s_cbranch_execz .LBB5_27
; %bb.26:
	ds_read2_b32 v[2:3], v1 offset1:16
	s_waitcnt lgkmcnt(0)
	v_add_u32_e32 v2, v2, v3
	ds_write_b32 v1, v2
.LBB5_27:
	;; [unrolled: 12-line block ×5, first 2 shown]
	s_or_b64 exec, exec, s[0:1]
	v_cmp_eq_u32_e32 vcc, 0, v0
	s_waitcnt lgkmcnt(0)
	s_barrier
	s_and_saveexec_b64 s[0:1], vcc
	s_cbranch_execz .LBB5_35
; %bb.34:
	v_mov_b32_e32 v3, 0
	ds_read_b64 v[1:2], v3
	s_waitcnt lgkmcnt(0)
	v_add_u32_e32 v1, v1, v2
	ds_write_b32 v3, v1
.LBB5_35:
	s_or_b64 exec, exec, s[0:1]
	s_waitcnt lgkmcnt(0)
	s_barrier
	v_cmp_eq_u32_e32 vcc, 0, v0
	s_and_saveexec_b64 s[0:1], vcc
	s_cbranch_execz .LBB5_8
.LBB5_36:
	v_mov_b32_e32 v0, 0
	ds_read_b32 v1, v0
	s_ashr_i32 s7, s6, 31
	s_lshl_b64 s[0:1], s[6:7], 2
	s_add_u32 s0, s2, s0
	s_addc_u32 s1, s3, s1
	s_waitcnt lgkmcnt(0)
	global_store_dword v0, v1, s[0:1]
	s_endpgm
	.section	.rodata,"a",@progbits
	.p2align	6, 0x0
	.amdhsa_kernel _ZN9rocsparseL15count_uncoloredILi256EiEEvT0_S1_S1_PKS1_PS1_
		.amdhsa_group_segment_fixed_size 1024
		.amdhsa_private_segment_fixed_size 0
		.amdhsa_kernarg_size 32
		.amdhsa_user_sgpr_count 6
		.amdhsa_user_sgpr_private_segment_buffer 1
		.amdhsa_user_sgpr_dispatch_ptr 0
		.amdhsa_user_sgpr_queue_ptr 0
		.amdhsa_user_sgpr_kernarg_segment_ptr 1
		.amdhsa_user_sgpr_dispatch_id 0
		.amdhsa_user_sgpr_flat_scratch_init 0
		.amdhsa_user_sgpr_private_segment_size 0
		.amdhsa_uses_dynamic_stack 0
		.amdhsa_system_sgpr_private_segment_wavefront_offset 0
		.amdhsa_system_sgpr_workgroup_id_x 1
		.amdhsa_system_sgpr_workgroup_id_y 0
		.amdhsa_system_sgpr_workgroup_id_z 0
		.amdhsa_system_sgpr_workgroup_info 0
		.amdhsa_system_vgpr_workitem_id 0
		.amdhsa_next_free_vgpr 11
		.amdhsa_next_free_sgpr 10
		.amdhsa_reserve_vcc 1
		.amdhsa_reserve_flat_scratch 0
		.amdhsa_float_round_mode_32 0
		.amdhsa_float_round_mode_16_64 0
		.amdhsa_float_denorm_mode_32 3
		.amdhsa_float_denorm_mode_16_64 3
		.amdhsa_dx10_clamp 1
		.amdhsa_ieee_mode 1
		.amdhsa_fp16_overflow 0
		.amdhsa_exception_fp_ieee_invalid_op 0
		.amdhsa_exception_fp_denorm_src 0
		.amdhsa_exception_fp_ieee_div_zero 0
		.amdhsa_exception_fp_ieee_overflow 0
		.amdhsa_exception_fp_ieee_underflow 0
		.amdhsa_exception_fp_ieee_inexact 0
		.amdhsa_exception_int_div_zero 0
	.end_amdhsa_kernel
	.section	.text._ZN9rocsparseL15count_uncoloredILi256EiEEvT0_S1_S1_PKS1_PS1_,"axG",@progbits,_ZN9rocsparseL15count_uncoloredILi256EiEEvT0_S1_S1_PKS1_PS1_,comdat
.Lfunc_end5:
	.size	_ZN9rocsparseL15count_uncoloredILi256EiEEvT0_S1_S1_PKS1_PS1_, .Lfunc_end5-_ZN9rocsparseL15count_uncoloredILi256EiEEvT0_S1_S1_PKS1_PS1_
                                        ; -- End function
	.set _ZN9rocsparseL15count_uncoloredILi256EiEEvT0_S1_S1_PKS1_PS1_.num_vgpr, 11
	.set _ZN9rocsparseL15count_uncoloredILi256EiEEvT0_S1_S1_PKS1_PS1_.num_agpr, 0
	.set _ZN9rocsparseL15count_uncoloredILi256EiEEvT0_S1_S1_PKS1_PS1_.numbered_sgpr, 10
	.set _ZN9rocsparseL15count_uncoloredILi256EiEEvT0_S1_S1_PKS1_PS1_.num_named_barrier, 0
	.set _ZN9rocsparseL15count_uncoloredILi256EiEEvT0_S1_S1_PKS1_PS1_.private_seg_size, 0
	.set _ZN9rocsparseL15count_uncoloredILi256EiEEvT0_S1_S1_PKS1_PS1_.uses_vcc, 1
	.set _ZN9rocsparseL15count_uncoloredILi256EiEEvT0_S1_S1_PKS1_PS1_.uses_flat_scratch, 0
	.set _ZN9rocsparseL15count_uncoloredILi256EiEEvT0_S1_S1_PKS1_PS1_.has_dyn_sized_stack, 0
	.set _ZN9rocsparseL15count_uncoloredILi256EiEEvT0_S1_S1_PKS1_PS1_.has_recursion, 0
	.set _ZN9rocsparseL15count_uncoloredILi256EiEEvT0_S1_S1_PKS1_PS1_.has_indirect_call, 0
	.section	.AMDGPU.csdata,"",@progbits
; Kernel info:
; codeLenInByte = 992
; TotalNumSgprs: 14
; NumVgprs: 11
; ScratchSize: 0
; MemoryBound: 0
; FloatMode: 240
; IeeeMode: 1
; LDSByteSize: 1024 bytes/workgroup (compile time only)
; SGPRBlocks: 1
; VGPRBlocks: 2
; NumSGPRsForWavesPerEU: 14
; NumVGPRsForWavesPerEU: 11
; Occupancy: 10
; WaveLimiterHint : 0
; COMPUTE_PGM_RSRC2:SCRATCH_EN: 0
; COMPUTE_PGM_RSRC2:USER_SGPR: 6
; COMPUTE_PGM_RSRC2:TRAP_HANDLER: 0
; COMPUTE_PGM_RSRC2:TGID_X_EN: 1
; COMPUTE_PGM_RSRC2:TGID_Y_EN: 0
; COMPUTE_PGM_RSRC2:TGID_Z_EN: 0
; COMPUTE_PGM_RSRC2:TIDIG_COMP_CNT: 0
	.section	.text._ZN9rocsparseL32csrcolor_assign_uncolored_kernelILi16ELi32EiEEvT1_S1_S1_S1_PS1_S2_,"axG",@progbits,_ZN9rocsparseL32csrcolor_assign_uncolored_kernelILi16ELi32EiEEvT1_S1_S1_S1_PS1_S2_,comdat
	.globl	_ZN9rocsparseL32csrcolor_assign_uncolored_kernelILi16ELi32EiEEvT1_S1_S1_S1_PS1_S2_ ; -- Begin function _ZN9rocsparseL32csrcolor_assign_uncolored_kernelILi16ELi32EiEEvT1_S1_S1_S1_PS1_S2_
	.p2align	8
	.type	_ZN9rocsparseL32csrcolor_assign_uncolored_kernelILi16ELi32EiEEvT1_S1_S1_S1_PS1_S2_,@function
_ZN9rocsparseL32csrcolor_assign_uncolored_kernelILi16ELi32EiEEvT1_S1_S1_S1_PS1_S2_: ; @_ZN9rocsparseL32csrcolor_assign_uncolored_kernelILi16ELi32EiEEvT1_S1_S1_S1_PS1_S2_
; %bb.0:
	s_load_dwordx4 s[8:11], s[4:5], 0x0
	v_lshrrev_b32_e32 v1, 5, v0
	v_and_b32_e32 v2, 31, v0
	v_lshl_or_b32 v0, s6, 4, v1
	s_waitcnt lgkmcnt(0)
	v_cmp_gt_i32_e32 vcc, s10, v0
	v_cmp_gt_i32_e64 s[0:1], s9, v2
	s_and_b64 s[0:1], vcc, s[0:1]
	s_and_saveexec_b64 s[2:3], s[0:1]
	s_cbranch_execz .LBB6_7
; %bb.1:
	s_load_dwordx4 s[0:3], s[4:5], 0x10
	v_ashrrev_i32_e32 v1, 31, v0
	v_lshlrev_b64 v[3:4], 2, v[0:1]
	s_waitcnt lgkmcnt(0)
	v_mov_b32_e32 v1, s3
	v_add_co_u32_e32 v3, vcc, s2, v3
	v_addc_co_u32_e32 v4, vcc, v1, v4, vcc
	global_load_dword v6, v[3:4], off
	v_mul_lo_u32 v3, s9, v0
	v_mbcnt_lo_u32_b32 v0, -1, 0
	v_mbcnt_hi_u32_b32 v0, -1, v0
	v_lshlrev_b32_e32 v0, 2, v0
	v_and_b32_e32 v0, 0x100, v0
	v_xor_b32_e32 v1, 31, v2
	v_or_b32_e32 v5, 0x7c, v0
	v_add_u32_e32 v0, v3, v2
	v_lshrrev_b32_e64 v4, v1, -1
	v_ashrrev_i32_e32 v1, 31, v0
	v_lshlrev_b64 v[0:1], 2, v[0:1]
	v_mov_b32_e32 v7, s1
	v_add_co_u32_e32 v0, vcc, s0, v0
	v_addc_co_u32_e32 v1, vcc, v7, v1, vcc
	s_mov_b64 s[2:3], 0
	s_waitcnt vmcnt(0)
	v_add_u32_e32 v6, s11, v6
	s_branch .LBB6_3
.LBB6_2:                                ;   in Loop: Header=BB6_3 Depth=1
	s_or_b64 exec, exec, s[4:5]
	ds_bpermute_b32 v7, v5, v7
	v_add_u32_e32 v2, 32, v2
	v_add_co_u32_e32 v0, vcc, 0x80, v0
	v_cmp_le_i32_e64 s[0:1], s9, v2
	s_waitcnt lgkmcnt(0)
	v_add_u32_e32 v6, v7, v6
	s_or_b64 s[2:3], s[0:1], s[2:3]
	v_addc_co_u32_e32 v1, vcc, 0, v1, vcc
	s_andn2_b64 exec, exec, s[2:3]
	s_cbranch_execz .LBB6_7
.LBB6_3:                                ; =>This Inner Loop Header: Depth=1
	v_add_u32_e32 v7, v3, v2
	v_cmp_gt_i32_e32 vcc, s8, v7
	s_mov_b64 s[0:1], 0
	s_and_saveexec_b64 s[4:5], vcc
	s_cbranch_execz .LBB6_5
; %bb.4:                                ;   in Loop: Header=BB6_3 Depth=1
	global_load_dword v7, v[0:1], off
	s_waitcnt vmcnt(0)
	v_cmp_eq_u32_e32 vcc, -1, v7
	s_and_b64 s[0:1], vcc, exec
.LBB6_5:                                ;   in Loop: Header=BB6_3 Depth=1
	s_or_b64 exec, exec, s[4:5]
	v_cndmask_b32_e64 v7, 0, 1, s[0:1]
	v_cmp_ne_u32_e32 vcc, 0, v7
	v_and_b32_e32 v7, vcc_lo, v4
	v_bcnt_u32_b32 v7, v7, 0
	s_waitcnt vmcnt(0)
	s_barrier
	s_and_saveexec_b64 s[4:5], s[0:1]
	s_cbranch_execz .LBB6_2
; %bb.6:                                ;   in Loop: Header=BB6_3 Depth=1
	v_add3_u32 v8, v6, v7, -1
	global_store_dword v[0:1], v8, off
	s_branch .LBB6_2
.LBB6_7:
	s_endpgm
	.section	.rodata,"a",@progbits
	.p2align	6, 0x0
	.amdhsa_kernel _ZN9rocsparseL32csrcolor_assign_uncolored_kernelILi16ELi32EiEEvT1_S1_S1_S1_PS1_S2_
		.amdhsa_group_segment_fixed_size 0
		.amdhsa_private_segment_fixed_size 0
		.amdhsa_kernarg_size 32
		.amdhsa_user_sgpr_count 6
		.amdhsa_user_sgpr_private_segment_buffer 1
		.amdhsa_user_sgpr_dispatch_ptr 0
		.amdhsa_user_sgpr_queue_ptr 0
		.amdhsa_user_sgpr_kernarg_segment_ptr 1
		.amdhsa_user_sgpr_dispatch_id 0
		.amdhsa_user_sgpr_flat_scratch_init 0
		.amdhsa_user_sgpr_private_segment_size 0
		.amdhsa_uses_dynamic_stack 0
		.amdhsa_system_sgpr_private_segment_wavefront_offset 0
		.amdhsa_system_sgpr_workgroup_id_x 1
		.amdhsa_system_sgpr_workgroup_id_y 0
		.amdhsa_system_sgpr_workgroup_id_z 0
		.amdhsa_system_sgpr_workgroup_info 0
		.amdhsa_system_vgpr_workitem_id 0
		.amdhsa_next_free_vgpr 9
		.amdhsa_next_free_sgpr 12
		.amdhsa_reserve_vcc 1
		.amdhsa_reserve_flat_scratch 0
		.amdhsa_float_round_mode_32 0
		.amdhsa_float_round_mode_16_64 0
		.amdhsa_float_denorm_mode_32 3
		.amdhsa_float_denorm_mode_16_64 3
		.amdhsa_dx10_clamp 1
		.amdhsa_ieee_mode 1
		.amdhsa_fp16_overflow 0
		.amdhsa_exception_fp_ieee_invalid_op 0
		.amdhsa_exception_fp_denorm_src 0
		.amdhsa_exception_fp_ieee_div_zero 0
		.amdhsa_exception_fp_ieee_overflow 0
		.amdhsa_exception_fp_ieee_underflow 0
		.amdhsa_exception_fp_ieee_inexact 0
		.amdhsa_exception_int_div_zero 0
	.end_amdhsa_kernel
	.section	.text._ZN9rocsparseL32csrcolor_assign_uncolored_kernelILi16ELi32EiEEvT1_S1_S1_S1_PS1_S2_,"axG",@progbits,_ZN9rocsparseL32csrcolor_assign_uncolored_kernelILi16ELi32EiEEvT1_S1_S1_S1_PS1_S2_,comdat
.Lfunc_end6:
	.size	_ZN9rocsparseL32csrcolor_assign_uncolored_kernelILi16ELi32EiEEvT1_S1_S1_S1_PS1_S2_, .Lfunc_end6-_ZN9rocsparseL32csrcolor_assign_uncolored_kernelILi16ELi32EiEEvT1_S1_S1_S1_PS1_S2_
                                        ; -- End function
	.set _ZN9rocsparseL32csrcolor_assign_uncolored_kernelILi16ELi32EiEEvT1_S1_S1_S1_PS1_S2_.num_vgpr, 9
	.set _ZN9rocsparseL32csrcolor_assign_uncolored_kernelILi16ELi32EiEEvT1_S1_S1_S1_PS1_S2_.num_agpr, 0
	.set _ZN9rocsparseL32csrcolor_assign_uncolored_kernelILi16ELi32EiEEvT1_S1_S1_S1_PS1_S2_.numbered_sgpr, 12
	.set _ZN9rocsparseL32csrcolor_assign_uncolored_kernelILi16ELi32EiEEvT1_S1_S1_S1_PS1_S2_.num_named_barrier, 0
	.set _ZN9rocsparseL32csrcolor_assign_uncolored_kernelILi16ELi32EiEEvT1_S1_S1_S1_PS1_S2_.private_seg_size, 0
	.set _ZN9rocsparseL32csrcolor_assign_uncolored_kernelILi16ELi32EiEEvT1_S1_S1_S1_PS1_S2_.uses_vcc, 1
	.set _ZN9rocsparseL32csrcolor_assign_uncolored_kernelILi16ELi32EiEEvT1_S1_S1_S1_PS1_S2_.uses_flat_scratch, 0
	.set _ZN9rocsparseL32csrcolor_assign_uncolored_kernelILi16ELi32EiEEvT1_S1_S1_S1_PS1_S2_.has_dyn_sized_stack, 0
	.set _ZN9rocsparseL32csrcolor_assign_uncolored_kernelILi16ELi32EiEEvT1_S1_S1_S1_PS1_S2_.has_recursion, 0
	.set _ZN9rocsparseL32csrcolor_assign_uncolored_kernelILi16ELi32EiEEvT1_S1_S1_S1_PS1_S2_.has_indirect_call, 0
	.section	.AMDGPU.csdata,"",@progbits
; Kernel info:
; codeLenInByte = 360
; TotalNumSgprs: 16
; NumVgprs: 9
; ScratchSize: 0
; MemoryBound: 0
; FloatMode: 240
; IeeeMode: 1
; LDSByteSize: 0 bytes/workgroup (compile time only)
; SGPRBlocks: 1
; VGPRBlocks: 2
; NumSGPRsForWavesPerEU: 16
; NumVGPRsForWavesPerEU: 9
; Occupancy: 10
; WaveLimiterHint : 0
; COMPUTE_PGM_RSRC2:SCRATCH_EN: 0
; COMPUTE_PGM_RSRC2:USER_SGPR: 6
; COMPUTE_PGM_RSRC2:TRAP_HANDLER: 0
; COMPUTE_PGM_RSRC2:TGID_X_EN: 1
; COMPUTE_PGM_RSRC2:TGID_Y_EN: 0
; COMPUTE_PGM_RSRC2:TGID_Z_EN: 0
; COMPUTE_PGM_RSRC2:TIDIG_COMP_CNT: 0
	.section	.text._ZN9rocsparseL32csrcolor_assign_uncolored_kernelILi16ELi64EiEEvT1_S1_S1_S1_PS1_S2_,"axG",@progbits,_ZN9rocsparseL32csrcolor_assign_uncolored_kernelILi16ELi64EiEEvT1_S1_S1_S1_PS1_S2_,comdat
	.globl	_ZN9rocsparseL32csrcolor_assign_uncolored_kernelILi16ELi64EiEEvT1_S1_S1_S1_PS1_S2_ ; -- Begin function _ZN9rocsparseL32csrcolor_assign_uncolored_kernelILi16ELi64EiEEvT1_S1_S1_S1_PS1_S2_
	.p2align	8
	.type	_ZN9rocsparseL32csrcolor_assign_uncolored_kernelILi16ELi64EiEEvT1_S1_S1_S1_PS1_S2_,@function
_ZN9rocsparseL32csrcolor_assign_uncolored_kernelILi16ELi64EiEEvT1_S1_S1_S1_PS1_S2_: ; @_ZN9rocsparseL32csrcolor_assign_uncolored_kernelILi16ELi64EiEEvT1_S1_S1_S1_PS1_S2_
; %bb.0:
	s_load_dwordx4 s[8:11], s[4:5], 0x0
	v_lshrrev_b32_e32 v1, 6, v0
	v_and_b32_e32 v4, 63, v0
	v_lshl_or_b32 v0, s6, 4, v1
	s_waitcnt lgkmcnt(0)
	v_cmp_gt_i32_e32 vcc, s10, v0
	v_cmp_gt_i32_e64 s[0:1], s9, v4
	s_and_b64 s[0:1], vcc, s[0:1]
	s_and_saveexec_b64 s[2:3], s[0:1]
	s_cbranch_execz .LBB7_7
; %bb.1:
	s_load_dwordx4 s[0:3], s[4:5], 0x10
	v_ashrrev_i32_e32 v1, 31, v0
	v_lshlrev_b64 v[1:2], 2, v[0:1]
	v_mul_lo_u32 v5, s9, v0
	s_waitcnt lgkmcnt(0)
	v_mov_b32_e32 v3, s3
	v_add_co_u32_e32 v1, vcc, s2, v1
	v_addc_co_u32_e32 v2, vcc, v3, v2, vcc
	global_load_dword v7, v[1:2], off
	v_mbcnt_lo_u32_b32 v2, -1, 0
	v_bfrev_b32_e32 v3, 0.5
	v_mbcnt_hi_u32_b32 v2, -1, v2
	v_lshl_or_b32 v6, v2, 2, v3
	v_add_u32_e32 v2, v5, v4
	v_ashrrev_i32_e32 v3, 31, v2
	v_lshlrev_b64 v[2:3], 2, v[2:3]
	v_xor_b32_e32 v1, 63, v4
	v_lshrrev_b64 v[0:1], v1, -1
	v_mov_b32_e32 v8, s1
	v_add_co_u32_e32 v2, vcc, s0, v2
	v_addc_co_u32_e32 v3, vcc, v8, v3, vcc
	s_mov_b64 s[2:3], 0
	s_waitcnt vmcnt(0)
	v_add_u32_e32 v7, s11, v7
	s_branch .LBB7_3
.LBB7_2:                                ;   in Loop: Header=BB7_3 Depth=1
	s_or_b64 exec, exec, s[4:5]
	ds_bpermute_b32 v8, v6, v8
	v_add_u32_e32 v4, 64, v4
	v_add_co_u32_e32 v2, vcc, 0x100, v2
	v_cmp_le_i32_e64 s[0:1], s9, v4
	s_waitcnt lgkmcnt(0)
	v_add_u32_e32 v7, v8, v7
	s_or_b64 s[2:3], s[0:1], s[2:3]
	v_addc_co_u32_e32 v3, vcc, 0, v3, vcc
	s_andn2_b64 exec, exec, s[2:3]
	s_cbranch_execz .LBB7_7
.LBB7_3:                                ; =>This Inner Loop Header: Depth=1
	v_add_u32_e32 v8, v5, v4
	v_cmp_gt_i32_e32 vcc, s8, v8
	s_mov_b64 s[0:1], 0
	s_and_saveexec_b64 s[4:5], vcc
	s_cbranch_execz .LBB7_5
; %bb.4:                                ;   in Loop: Header=BB7_3 Depth=1
	global_load_dword v8, v[2:3], off
	s_waitcnt vmcnt(0)
	v_cmp_eq_u32_e32 vcc, -1, v8
	s_and_b64 s[0:1], vcc, exec
.LBB7_5:                                ;   in Loop: Header=BB7_3 Depth=1
	s_or_b64 exec, exec, s[4:5]
	v_cndmask_b32_e64 v8, 0, 1, s[0:1]
	v_cmp_ne_u32_e32 vcc, 0, v8
	v_and_b32_e32 v9, vcc_lo, v0
	v_and_b32_e32 v8, vcc_hi, v1
	v_bcnt_u32_b32 v9, v9, 0
	v_bcnt_u32_b32 v8, v8, v9
	s_waitcnt vmcnt(0)
	s_barrier
	s_and_saveexec_b64 s[4:5], s[0:1]
	s_cbranch_execz .LBB7_2
; %bb.6:                                ;   in Loop: Header=BB7_3 Depth=1
	v_add3_u32 v9, v7, v8, -1
	global_store_dword v[2:3], v9, off
	s_branch .LBB7_2
.LBB7_7:
	s_endpgm
	.section	.rodata,"a",@progbits
	.p2align	6, 0x0
	.amdhsa_kernel _ZN9rocsparseL32csrcolor_assign_uncolored_kernelILi16ELi64EiEEvT1_S1_S1_S1_PS1_S2_
		.amdhsa_group_segment_fixed_size 0
		.amdhsa_private_segment_fixed_size 0
		.amdhsa_kernarg_size 32
		.amdhsa_user_sgpr_count 6
		.amdhsa_user_sgpr_private_segment_buffer 1
		.amdhsa_user_sgpr_dispatch_ptr 0
		.amdhsa_user_sgpr_queue_ptr 0
		.amdhsa_user_sgpr_kernarg_segment_ptr 1
		.amdhsa_user_sgpr_dispatch_id 0
		.amdhsa_user_sgpr_flat_scratch_init 0
		.amdhsa_user_sgpr_private_segment_size 0
		.amdhsa_uses_dynamic_stack 0
		.amdhsa_system_sgpr_private_segment_wavefront_offset 0
		.amdhsa_system_sgpr_workgroup_id_x 1
		.amdhsa_system_sgpr_workgroup_id_y 0
		.amdhsa_system_sgpr_workgroup_id_z 0
		.amdhsa_system_sgpr_workgroup_info 0
		.amdhsa_system_vgpr_workitem_id 0
		.amdhsa_next_free_vgpr 10
		.amdhsa_next_free_sgpr 12
		.amdhsa_reserve_vcc 1
		.amdhsa_reserve_flat_scratch 0
		.amdhsa_float_round_mode_32 0
		.amdhsa_float_round_mode_16_64 0
		.amdhsa_float_denorm_mode_32 3
		.amdhsa_float_denorm_mode_16_64 3
		.amdhsa_dx10_clamp 1
		.amdhsa_ieee_mode 1
		.amdhsa_fp16_overflow 0
		.amdhsa_exception_fp_ieee_invalid_op 0
		.amdhsa_exception_fp_denorm_src 0
		.amdhsa_exception_fp_ieee_div_zero 0
		.amdhsa_exception_fp_ieee_overflow 0
		.amdhsa_exception_fp_ieee_underflow 0
		.amdhsa_exception_fp_ieee_inexact 0
		.amdhsa_exception_int_div_zero 0
	.end_amdhsa_kernel
	.section	.text._ZN9rocsparseL32csrcolor_assign_uncolored_kernelILi16ELi64EiEEvT1_S1_S1_S1_PS1_S2_,"axG",@progbits,_ZN9rocsparseL32csrcolor_assign_uncolored_kernelILi16ELi64EiEEvT1_S1_S1_S1_PS1_S2_,comdat
.Lfunc_end7:
	.size	_ZN9rocsparseL32csrcolor_assign_uncolored_kernelILi16ELi64EiEEvT1_S1_S1_S1_PS1_S2_, .Lfunc_end7-_ZN9rocsparseL32csrcolor_assign_uncolored_kernelILi16ELi64EiEEvT1_S1_S1_S1_PS1_S2_
                                        ; -- End function
	.set _ZN9rocsparseL32csrcolor_assign_uncolored_kernelILi16ELi64EiEEvT1_S1_S1_S1_PS1_S2_.num_vgpr, 10
	.set _ZN9rocsparseL32csrcolor_assign_uncolored_kernelILi16ELi64EiEEvT1_S1_S1_S1_PS1_S2_.num_agpr, 0
	.set _ZN9rocsparseL32csrcolor_assign_uncolored_kernelILi16ELi64EiEEvT1_S1_S1_S1_PS1_S2_.numbered_sgpr, 12
	.set _ZN9rocsparseL32csrcolor_assign_uncolored_kernelILi16ELi64EiEEvT1_S1_S1_S1_PS1_S2_.num_named_barrier, 0
	.set _ZN9rocsparseL32csrcolor_assign_uncolored_kernelILi16ELi64EiEEvT1_S1_S1_S1_PS1_S2_.private_seg_size, 0
	.set _ZN9rocsparseL32csrcolor_assign_uncolored_kernelILi16ELi64EiEEvT1_S1_S1_S1_PS1_S2_.uses_vcc, 1
	.set _ZN9rocsparseL32csrcolor_assign_uncolored_kernelILi16ELi64EiEEvT1_S1_S1_S1_PS1_S2_.uses_flat_scratch, 0
	.set _ZN9rocsparseL32csrcolor_assign_uncolored_kernelILi16ELi64EiEEvT1_S1_S1_S1_PS1_S2_.has_dyn_sized_stack, 0
	.set _ZN9rocsparseL32csrcolor_assign_uncolored_kernelILi16ELi64EiEEvT1_S1_S1_S1_PS1_S2_.has_recursion, 0
	.set _ZN9rocsparseL32csrcolor_assign_uncolored_kernelILi16ELi64EiEEvT1_S1_S1_S1_PS1_S2_.has_indirect_call, 0
	.section	.AMDGPU.csdata,"",@progbits
; Kernel info:
; codeLenInByte = 364
; TotalNumSgprs: 16
; NumVgprs: 10
; ScratchSize: 0
; MemoryBound: 0
; FloatMode: 240
; IeeeMode: 1
; LDSByteSize: 0 bytes/workgroup (compile time only)
; SGPRBlocks: 1
; VGPRBlocks: 2
; NumSGPRsForWavesPerEU: 16
; NumVGPRsForWavesPerEU: 10
; Occupancy: 10
; WaveLimiterHint : 0
; COMPUTE_PGM_RSRC2:SCRATCH_EN: 0
; COMPUTE_PGM_RSRC2:USER_SGPR: 6
; COMPUTE_PGM_RSRC2:TRAP_HANDLER: 0
; COMPUTE_PGM_RSRC2:TGID_X_EN: 1
; COMPUTE_PGM_RSRC2:TGID_Y_EN: 0
; COMPUTE_PGM_RSRC2:TGID_Z_EN: 0
; COMPUTE_PGM_RSRC2:TIDIG_COMP_CNT: 0
	.section	.text._ZN9rocsparseL28csrcolor_reordering_identityILi1024EiEEvT0_PS1_,"axG",@progbits,_ZN9rocsparseL28csrcolor_reordering_identityILi1024EiEEvT0_PS1_,comdat
	.globl	_ZN9rocsparseL28csrcolor_reordering_identityILi1024EiEEvT0_PS1_ ; -- Begin function _ZN9rocsparseL28csrcolor_reordering_identityILi1024EiEEvT0_PS1_
	.p2align	8
	.type	_ZN9rocsparseL28csrcolor_reordering_identityILi1024EiEEvT0_PS1_,@function
_ZN9rocsparseL28csrcolor_reordering_identityILi1024EiEEvT0_PS1_: ; @_ZN9rocsparseL28csrcolor_reordering_identityILi1024EiEEvT0_PS1_
; %bb.0:
	s_load_dword s0, s[4:5], 0x0
	v_lshl_or_b32 v0, s6, 10, v0
	s_waitcnt lgkmcnt(0)
	v_cmp_gt_i32_e32 vcc, s0, v0
	s_and_saveexec_b64 s[0:1], vcc
	s_cbranch_execz .LBB8_2
; %bb.1:
	s_load_dwordx2 s[0:1], s[4:5], 0x8
	v_ashrrev_i32_e32 v1, 31, v0
	v_lshlrev_b64 v[1:2], 2, v[0:1]
	s_waitcnt lgkmcnt(0)
	v_mov_b32_e32 v3, s1
	v_add_co_u32_e32 v1, vcc, s0, v1
	v_addc_co_u32_e32 v2, vcc, v3, v2, vcc
	global_store_dword v[1:2], v0, off
.LBB8_2:
	s_endpgm
	.section	.rodata,"a",@progbits
	.p2align	6, 0x0
	.amdhsa_kernel _ZN9rocsparseL28csrcolor_reordering_identityILi1024EiEEvT0_PS1_
		.amdhsa_group_segment_fixed_size 0
		.amdhsa_private_segment_fixed_size 0
		.amdhsa_kernarg_size 16
		.amdhsa_user_sgpr_count 6
		.amdhsa_user_sgpr_private_segment_buffer 1
		.amdhsa_user_sgpr_dispatch_ptr 0
		.amdhsa_user_sgpr_queue_ptr 0
		.amdhsa_user_sgpr_kernarg_segment_ptr 1
		.amdhsa_user_sgpr_dispatch_id 0
		.amdhsa_user_sgpr_flat_scratch_init 0
		.amdhsa_user_sgpr_private_segment_size 0
		.amdhsa_uses_dynamic_stack 0
		.amdhsa_system_sgpr_private_segment_wavefront_offset 0
		.amdhsa_system_sgpr_workgroup_id_x 1
		.amdhsa_system_sgpr_workgroup_id_y 0
		.amdhsa_system_sgpr_workgroup_id_z 0
		.amdhsa_system_sgpr_workgroup_info 0
		.amdhsa_system_vgpr_workitem_id 0
		.amdhsa_next_free_vgpr 4
		.amdhsa_next_free_sgpr 7
		.amdhsa_reserve_vcc 1
		.amdhsa_reserve_flat_scratch 0
		.amdhsa_float_round_mode_32 0
		.amdhsa_float_round_mode_16_64 0
		.amdhsa_float_denorm_mode_32 3
		.amdhsa_float_denorm_mode_16_64 3
		.amdhsa_dx10_clamp 1
		.amdhsa_ieee_mode 1
		.amdhsa_fp16_overflow 0
		.amdhsa_exception_fp_ieee_invalid_op 0
		.amdhsa_exception_fp_denorm_src 0
		.amdhsa_exception_fp_ieee_div_zero 0
		.amdhsa_exception_fp_ieee_overflow 0
		.amdhsa_exception_fp_ieee_underflow 0
		.amdhsa_exception_fp_ieee_inexact 0
		.amdhsa_exception_int_div_zero 0
	.end_amdhsa_kernel
	.section	.text._ZN9rocsparseL28csrcolor_reordering_identityILi1024EiEEvT0_PS1_,"axG",@progbits,_ZN9rocsparseL28csrcolor_reordering_identityILi1024EiEEvT0_PS1_,comdat
.Lfunc_end8:
	.size	_ZN9rocsparseL28csrcolor_reordering_identityILi1024EiEEvT0_PS1_, .Lfunc_end8-_ZN9rocsparseL28csrcolor_reordering_identityILi1024EiEEvT0_PS1_
                                        ; -- End function
	.set _ZN9rocsparseL28csrcolor_reordering_identityILi1024EiEEvT0_PS1_.num_vgpr, 4
	.set _ZN9rocsparseL28csrcolor_reordering_identityILi1024EiEEvT0_PS1_.num_agpr, 0
	.set _ZN9rocsparseL28csrcolor_reordering_identityILi1024EiEEvT0_PS1_.numbered_sgpr, 7
	.set _ZN9rocsparseL28csrcolor_reordering_identityILi1024EiEEvT0_PS1_.num_named_barrier, 0
	.set _ZN9rocsparseL28csrcolor_reordering_identityILi1024EiEEvT0_PS1_.private_seg_size, 0
	.set _ZN9rocsparseL28csrcolor_reordering_identityILi1024EiEEvT0_PS1_.uses_vcc, 1
	.set _ZN9rocsparseL28csrcolor_reordering_identityILi1024EiEEvT0_PS1_.uses_flat_scratch, 0
	.set _ZN9rocsparseL28csrcolor_reordering_identityILi1024EiEEvT0_PS1_.has_dyn_sized_stack, 0
	.set _ZN9rocsparseL28csrcolor_reordering_identityILi1024EiEEvT0_PS1_.has_recursion, 0
	.set _ZN9rocsparseL28csrcolor_reordering_identityILi1024EiEEvT0_PS1_.has_indirect_call, 0
	.section	.AMDGPU.csdata,"",@progbits
; Kernel info:
; codeLenInByte = 80
; TotalNumSgprs: 11
; NumVgprs: 4
; ScratchSize: 0
; MemoryBound: 0
; FloatMode: 240
; IeeeMode: 1
; LDSByteSize: 0 bytes/workgroup (compile time only)
; SGPRBlocks: 1
; VGPRBlocks: 0
; NumSGPRsForWavesPerEU: 11
; NumVGPRsForWavesPerEU: 4
; Occupancy: 10
; WaveLimiterHint : 0
; COMPUTE_PGM_RSRC2:SCRATCH_EN: 0
; COMPUTE_PGM_RSRC2:USER_SGPR: 6
; COMPUTE_PGM_RSRC2:TRAP_HANDLER: 0
; COMPUTE_PGM_RSRC2:TGID_X_EN: 1
; COMPUTE_PGM_RSRC2:TGID_Y_EN: 0
; COMPUTE_PGM_RSRC2:TGID_Z_EN: 0
; COMPUTE_PGM_RSRC2:TIDIG_COMP_CNT: 0
	.section	.AMDGPU.gpr_maximums,"",@progbits
	.set amdgpu.max_num_vgpr, 0
	.set amdgpu.max_num_agpr, 0
	.set amdgpu.max_num_sgpr, 0
	.section	.AMDGPU.csdata,"",@progbits
	.type	__hip_cuid_186098a6bd990c39,@object ; @__hip_cuid_186098a6bd990c39
	.section	.bss,"aw",@nobits
	.globl	__hip_cuid_186098a6bd990c39
__hip_cuid_186098a6bd990c39:
	.byte	0                               ; 0x0
	.size	__hip_cuid_186098a6bd990c39, 1

	.ident	"AMD clang version 22.0.0git (https://github.com/RadeonOpenCompute/llvm-project roc-7.2.4 26084 f58b06dce1f9c15707c5f808fd002e18c2accf7e)"
	.section	".note.GNU-stack","",@progbits
	.addrsig
	.addrsig_sym __hip_cuid_186098a6bd990c39
	.amdgpu_metadata
---
amdhsa.kernels:
  - .args:
      - .offset:         0
        .size:           4
        .value_kind:     by_value
      - .offset:         4
        .size:           4
        .value_kind:     by_value
      - .actual_access:  read_only
        .address_space:  global
        .offset:         8
        .size:           8
        .value_kind:     global_buffer
      - .actual_access:  read_only
        .address_space:  global
        .offset:         16
        .size:           8
        .value_kind:     global_buffer
      - .offset:         24
        .size:           4
        .value_kind:     by_value
      - .address_space:  global
        .offset:         32
        .size:           8
        .value_kind:     global_buffer
      - .offset:         40
        .size:           4
        .value_kind:     hidden_block_count_x
      - .offset:         44
        .size:           4
        .value_kind:     hidden_block_count_y
      - .offset:         48
        .size:           4
        .value_kind:     hidden_block_count_z
      - .offset:         52
        .size:           2
        .value_kind:     hidden_group_size_x
      - .offset:         54
        .size:           2
        .value_kind:     hidden_group_size_y
      - .offset:         56
        .size:           2
        .value_kind:     hidden_group_size_z
      - .offset:         58
        .size:           2
        .value_kind:     hidden_remainder_x
      - .offset:         60
        .size:           2
        .value_kind:     hidden_remainder_y
      - .offset:         62
        .size:           2
        .value_kind:     hidden_remainder_z
      - .offset:         80
        .size:           8
        .value_kind:     hidden_global_offset_x
      - .offset:         88
        .size:           8
        .value_kind:     hidden_global_offset_y
      - .offset:         96
        .size:           8
        .value_kind:     hidden_global_offset_z
      - .offset:         104
        .size:           2
        .value_kind:     hidden_grid_dims
    .group_segment_fixed_size: 0
    .kernarg_segment_align: 8
    .kernarg_segment_size: 296
    .language:       OpenCL C
    .language_version:
      - 2
      - 0
    .max_flat_workgroup_size: 256
    .name:           _ZN9rocsparseL19csrcolor_kernel_jplILj256EiiEEvT1_S1_PKT0_PKS1_21rocsparse_index_base_PS1_
    .private_segment_fixed_size: 0
    .sgpr_count:     40
    .sgpr_spill_count: 0
    .symbol:         _ZN9rocsparseL19csrcolor_kernel_jplILj256EiiEEvT1_S1_PKT0_PKS1_21rocsparse_index_base_PS1_.kd
    .uniform_work_group_size: 1
    .uses_dynamic_stack: false
    .vgpr_count:     12
    .vgpr_spill_count: 0
    .wavefront_size: 64
  - .args:
      - .offset:         0
        .size:           4
        .value_kind:     by_value
      - .actual_access:  read_only
        .address_space:  global
        .offset:         8
        .size:           8
        .value_kind:     global_buffer
      - .actual_access:  write_only
        .address_space:  global
        .offset:         16
        .size:           8
        .value_kind:     global_buffer
      - .offset:         24
        .size:           4
        .value_kind:     hidden_block_count_x
      - .offset:         28
        .size:           4
        .value_kind:     hidden_block_count_y
      - .offset:         32
        .size:           4
        .value_kind:     hidden_block_count_z
      - .offset:         36
        .size:           2
        .value_kind:     hidden_group_size_x
      - .offset:         38
        .size:           2
        .value_kind:     hidden_group_size_y
      - .offset:         40
        .size:           2
        .value_kind:     hidden_group_size_z
      - .offset:         42
        .size:           2
        .value_kind:     hidden_remainder_x
      - .offset:         44
        .size:           2
        .value_kind:     hidden_remainder_y
      - .offset:         46
        .size:           2
        .value_kind:     hidden_remainder_z
      - .offset:         64
        .size:           8
        .value_kind:     hidden_global_offset_x
      - .offset:         72
        .size:           8
        .value_kind:     hidden_global_offset_y
      - .offset:         80
        .size:           8
        .value_kind:     hidden_global_offset_z
      - .offset:         88
        .size:           2
        .value_kind:     hidden_grid_dims
    .group_segment_fixed_size: 1024
    .kernarg_segment_align: 8
    .kernarg_segment_size: 280
    .language:       OpenCL C
    .language_version:
      - 2
      - 0
    .max_flat_workgroup_size: 256
    .name:           _ZN9rocsparseL31csrcolor_kernel_count_uncoloredILj256EiEEvT0_PKS1_PS1_
    .private_segment_fixed_size: 0
    .sgpr_count:     18
    .sgpr_spill_count: 0
    .symbol:         _ZN9rocsparseL31csrcolor_kernel_count_uncoloredILj256EiEEvT0_PKS1_PS1_.kd
    .uniform_work_group_size: 1
    .uses_dynamic_stack: false
    .vgpr_count:     7
    .vgpr_spill_count: 0
    .wavefront_size: 64
  - .args:
      - .address_space:  global
        .offset:         0
        .size:           8
        .value_kind:     global_buffer
    .group_segment_fixed_size: 1024
    .kernarg_segment_align: 8
    .kernarg_segment_size: 8
    .language:       OpenCL C
    .language_version:
      - 2
      - 0
    .max_flat_workgroup_size: 256
    .name:           _ZN9rocsparseL40csrcolor_kernel_count_uncolored_finalizeILj256EiEEvPT0_
    .private_segment_fixed_size: 0
    .sgpr_count:     10
    .sgpr_spill_count: 0
    .symbol:         _ZN9rocsparseL40csrcolor_kernel_count_uncolored_finalizeILj256EiEEvPT0_.kd
    .uniform_work_group_size: 1
    .uses_dynamic_stack: false
    .vgpr_count:     4
    .vgpr_spill_count: 0
    .wavefront_size: 64
  - .args:
      - .offset:         0
        .size:           4
        .value_kind:     by_value
      - .actual_access:  read_only
        .address_space:  global
        .offset:         8
        .size:           8
        .value_kind:     global_buffer
      - .actual_access:  write_only
        .address_space:  global
        .offset:         16
        .size:           8
        .value_kind:     global_buffer
      - .offset:         24
        .size:           4
        .value_kind:     hidden_block_count_x
      - .offset:         28
        .size:           4
        .value_kind:     hidden_block_count_y
      - .offset:         32
        .size:           4
        .value_kind:     hidden_block_count_z
      - .offset:         36
        .size:           2
        .value_kind:     hidden_group_size_x
      - .offset:         38
        .size:           2
        .value_kind:     hidden_group_size_y
      - .offset:         40
        .size:           2
        .value_kind:     hidden_group_size_z
      - .offset:         42
        .size:           2
        .value_kind:     hidden_remainder_x
      - .offset:         44
        .size:           2
        .value_kind:     hidden_remainder_y
      - .offset:         46
        .size:           2
        .value_kind:     hidden_remainder_z
      - .offset:         64
        .size:           8
        .value_kind:     hidden_global_offset_x
      - .offset:         72
        .size:           8
        .value_kind:     hidden_global_offset_y
      - .offset:         80
        .size:           8
        .value_kind:     hidden_global_offset_z
      - .offset:         88
        .size:           2
        .value_kind:     hidden_grid_dims
    .group_segment_fixed_size: 1024
    .kernarg_segment_align: 8
    .kernarg_segment_size: 280
    .language:       OpenCL C
    .language_version:
      - 2
      - 0
    .max_flat_workgroup_size: 256
    .name:           _ZN9rocsparseL28csrcolor_kernel_count_colorsILj256EiEEvT0_PKS1_PS1_
    .private_segment_fixed_size: 0
    .sgpr_count:     18
    .sgpr_spill_count: 0
    .symbol:         _ZN9rocsparseL28csrcolor_kernel_count_colorsILj256EiEEvT0_PKS1_PS1_.kd
    .uniform_work_group_size: 1
    .uses_dynamic_stack: false
    .vgpr_count:     7
    .vgpr_spill_count: 0
    .wavefront_size: 64
  - .args:
      - .address_space:  global
        .offset:         0
        .size:           8
        .value_kind:     global_buffer
    .group_segment_fixed_size: 1024
    .kernarg_segment_align: 8
    .kernarg_segment_size: 8
    .language:       OpenCL C
    .language_version:
      - 2
      - 0
    .max_flat_workgroup_size: 256
    .name:           _ZN9rocsparseL37csrcolor_kernel_count_colors_finalizeILj256EiEEvPT0_
    .private_segment_fixed_size: 0
    .sgpr_count:     10
    .sgpr_spill_count: 0
    .symbol:         _ZN9rocsparseL37csrcolor_kernel_count_colors_finalizeILj256EiEEvPT0_.kd
    .uniform_work_group_size: 1
    .uses_dynamic_stack: false
    .vgpr_count:     4
    .vgpr_spill_count: 0
    .wavefront_size: 64
  - .args:
      - .offset:         0
        .size:           4
        .value_kind:     by_value
      - .offset:         4
        .size:           4
        .value_kind:     by_value
      - .offset:         8
        .size:           4
        .value_kind:     by_value
      - .actual_access:  read_only
        .address_space:  global
        .offset:         16
        .size:           8
        .value_kind:     global_buffer
      - .actual_access:  write_only
        .address_space:  global
        .offset:         24
        .size:           8
        .value_kind:     global_buffer
    .group_segment_fixed_size: 1024
    .kernarg_segment_align: 8
    .kernarg_segment_size: 32
    .language:       OpenCL C
    .language_version:
      - 2
      - 0
    .max_flat_workgroup_size: 256
    .name:           _ZN9rocsparseL15count_uncoloredILi256EiEEvT0_S1_S1_PKS1_PS1_
    .private_segment_fixed_size: 0
    .sgpr_count:     14
    .sgpr_spill_count: 0
    .symbol:         _ZN9rocsparseL15count_uncoloredILi256EiEEvT0_S1_S1_PKS1_PS1_.kd
    .uniform_work_group_size: 1
    .uses_dynamic_stack: false
    .vgpr_count:     11
    .vgpr_spill_count: 0
    .wavefront_size: 64
  - .args:
      - .offset:         0
        .size:           4
        .value_kind:     by_value
      - .offset:         4
        .size:           4
        .value_kind:     by_value
      - .offset:         8
        .size:           4
        .value_kind:     by_value
      - .offset:         12
        .size:           4
        .value_kind:     by_value
      - .address_space:  global
        .offset:         16
        .size:           8
        .value_kind:     global_buffer
      - .actual_access:  read_only
        .address_space:  global
        .offset:         24
        .size:           8
        .value_kind:     global_buffer
    .group_segment_fixed_size: 0
    .kernarg_segment_align: 8
    .kernarg_segment_size: 32
    .language:       OpenCL C
    .language_version:
      - 2
      - 0
    .max_flat_workgroup_size: 512
    .name:           _ZN9rocsparseL32csrcolor_assign_uncolored_kernelILi16ELi32EiEEvT1_S1_S1_S1_PS1_S2_
    .private_segment_fixed_size: 0
    .sgpr_count:     16
    .sgpr_spill_count: 0
    .symbol:         _ZN9rocsparseL32csrcolor_assign_uncolored_kernelILi16ELi32EiEEvT1_S1_S1_S1_PS1_S2_.kd
    .uniform_work_group_size: 1
    .uses_dynamic_stack: false
    .vgpr_count:     9
    .vgpr_spill_count: 0
    .wavefront_size: 64
  - .args:
      - .offset:         0
        .size:           4
        .value_kind:     by_value
      - .offset:         4
        .size:           4
        .value_kind:     by_value
      - .offset:         8
        .size:           4
        .value_kind:     by_value
      - .offset:         12
        .size:           4
        .value_kind:     by_value
      - .address_space:  global
        .offset:         16
        .size:           8
        .value_kind:     global_buffer
      - .actual_access:  read_only
        .address_space:  global
        .offset:         24
        .size:           8
        .value_kind:     global_buffer
    .group_segment_fixed_size: 0
    .kernarg_segment_align: 8
    .kernarg_segment_size: 32
    .language:       OpenCL C
    .language_version:
      - 2
      - 0
    .max_flat_workgroup_size: 1024
    .name:           _ZN9rocsparseL32csrcolor_assign_uncolored_kernelILi16ELi64EiEEvT1_S1_S1_S1_PS1_S2_
    .private_segment_fixed_size: 0
    .sgpr_count:     16
    .sgpr_spill_count: 0
    .symbol:         _ZN9rocsparseL32csrcolor_assign_uncolored_kernelILi16ELi64EiEEvT1_S1_S1_S1_PS1_S2_.kd
    .uniform_work_group_size: 1
    .uses_dynamic_stack: false
    .vgpr_count:     10
    .vgpr_spill_count: 0
    .wavefront_size: 64
  - .args:
      - .offset:         0
        .size:           4
        .value_kind:     by_value
      - .address_space:  global
        .offset:         8
        .size:           8
        .value_kind:     global_buffer
    .group_segment_fixed_size: 0
    .kernarg_segment_align: 8
    .kernarg_segment_size: 16
    .language:       OpenCL C
    .language_version:
      - 2
      - 0
    .max_flat_workgroup_size: 1024
    .name:           _ZN9rocsparseL28csrcolor_reordering_identityILi1024EiEEvT0_PS1_
    .private_segment_fixed_size: 0
    .sgpr_count:     11
    .sgpr_spill_count: 0
    .symbol:         _ZN9rocsparseL28csrcolor_reordering_identityILi1024EiEEvT0_PS1_.kd
    .uniform_work_group_size: 1
    .uses_dynamic_stack: false
    .vgpr_count:     4
    .vgpr_spill_count: 0
    .wavefront_size: 64
amdhsa.target:   amdgcn-amd-amdhsa--gfx906
amdhsa.version:
  - 1
  - 2
...

	.end_amdgpu_metadata
